;; amdgpu-corpus repo=ROCm/rocFFT kind=compiled arch=gfx1201 opt=O3
	.text
	.amdgcn_target "amdgcn-amd-amdhsa--gfx1201"
	.amdhsa_code_object_version 6
	.protected	fft_rtc_fwd_len272_factors_16_17_wgs_119_tpt_17_halfLds_dp_ip_CI_sbrr_dirReg ; -- Begin function fft_rtc_fwd_len272_factors_16_17_wgs_119_tpt_17_halfLds_dp_ip_CI_sbrr_dirReg
	.globl	fft_rtc_fwd_len272_factors_16_17_wgs_119_tpt_17_halfLds_dp_ip_CI_sbrr_dirReg
	.p2align	8
	.type	fft_rtc_fwd_len272_factors_16_17_wgs_119_tpt_17_halfLds_dp_ip_CI_sbrr_dirReg,@function
fft_rtc_fwd_len272_factors_16_17_wgs_119_tpt_17_halfLds_dp_ip_CI_sbrr_dirReg: ; @fft_rtc_fwd_len272_factors_16_17_wgs_119_tpt_17_halfLds_dp_ip_CI_sbrr_dirReg
; %bb.0:
	s_clause 0x1
	s_load_b64 s[12:13], s[0:1], 0x18
	s_load_b128 s[4:7], s[0:1], 0x0
	v_mul_u32_u24_e32 v1, 0xf10, v0
	v_mov_b32_e32 v3, 0
	s_load_b64 s[10:11], s[0:1], 0x50
	s_wait_kmcnt 0x0
	s_load_b64 s[8:9], s[12:13], 0x0
	v_lshrrev_b32_e32 v1, 16, v1
	v_cmp_lt_u64_e64 s2, s[6:7], 2
	s_delay_alu instid0(VALU_DEP_2) | instskip(SKIP_2) | instid1(VALU_DEP_4)
	v_mad_co_u64_u32 v[22:23], null, ttmp9, 7, v[1:2]
	v_mov_b32_e32 v1, 0
	v_dual_mov_b32 v2, 0 :: v_dual_mov_b32 v23, v3
	s_and_b32 vcc_lo, exec_lo, s2
	s_delay_alu instid0(VALU_DEP_1)
	v_dual_mov_b32 v7, v22 :: v_dual_mov_b32 v8, v23
	s_cbranch_vccnz .LBB0_8
; %bb.1:
	s_load_b64 s[2:3], s[0:1], 0x10
	v_mov_b32_e32 v1, 0
	v_dual_mov_b32 v2, 0 :: v_dual_mov_b32 v5, v22
	v_mov_b32_e32 v6, v23
	s_add_nc_u64 s[14:15], s[12:13], 8
	s_mov_b64 s[16:17], 1
	s_wait_kmcnt 0x0
	s_add_nc_u64 s[18:19], s[2:3], 8
	s_mov_b32 s3, 0
.LBB0_2:                                ; =>This Inner Loop Header: Depth=1
	s_load_b64 s[20:21], s[18:19], 0x0
                                        ; implicit-def: $vgpr7_vgpr8
	s_mov_b32 s2, exec_lo
	s_wait_kmcnt 0x0
	v_or_b32_e32 v4, s21, v6
	s_delay_alu instid0(VALU_DEP_1)
	v_cmpx_ne_u64_e32 0, v[3:4]
	s_wait_alu 0xfffe
	s_xor_b32 s22, exec_lo, s2
	s_cbranch_execz .LBB0_4
; %bb.3:                                ;   in Loop: Header=BB0_2 Depth=1
	s_cvt_f32_u32 s2, s20
	s_cvt_f32_u32 s23, s21
	s_sub_nc_u64 s[26:27], 0, s[20:21]
	s_wait_alu 0xfffe
	s_delay_alu instid0(SALU_CYCLE_1) | instskip(SKIP_1) | instid1(SALU_CYCLE_2)
	s_fmamk_f32 s2, s23, 0x4f800000, s2
	s_wait_alu 0xfffe
	v_s_rcp_f32 s2, s2
	s_delay_alu instid0(TRANS32_DEP_1) | instskip(SKIP_1) | instid1(SALU_CYCLE_2)
	s_mul_f32 s2, s2, 0x5f7ffffc
	s_wait_alu 0xfffe
	s_mul_f32 s23, s2, 0x2f800000
	s_wait_alu 0xfffe
	s_delay_alu instid0(SALU_CYCLE_2) | instskip(SKIP_1) | instid1(SALU_CYCLE_2)
	s_trunc_f32 s23, s23
	s_wait_alu 0xfffe
	s_fmamk_f32 s2, s23, 0xcf800000, s2
	s_cvt_u32_f32 s25, s23
	s_wait_alu 0xfffe
	s_delay_alu instid0(SALU_CYCLE_1) | instskip(SKIP_1) | instid1(SALU_CYCLE_2)
	s_cvt_u32_f32 s24, s2
	s_wait_alu 0xfffe
	s_mul_u64 s[28:29], s[26:27], s[24:25]
	s_wait_alu 0xfffe
	s_mul_hi_u32 s31, s24, s29
	s_mul_i32 s30, s24, s29
	s_mul_hi_u32 s2, s24, s28
	s_mul_i32 s33, s25, s28
	s_wait_alu 0xfffe
	s_add_nc_u64 s[30:31], s[2:3], s[30:31]
	s_mul_hi_u32 s23, s25, s28
	s_mul_hi_u32 s34, s25, s29
	s_add_co_u32 s2, s30, s33
	s_wait_alu 0xfffe
	s_add_co_ci_u32 s2, s31, s23
	s_mul_i32 s28, s25, s29
	s_add_co_ci_u32 s29, s34, 0
	s_wait_alu 0xfffe
	s_add_nc_u64 s[28:29], s[2:3], s[28:29]
	s_wait_alu 0xfffe
	v_add_co_u32 v4, s2, s24, s28
	s_delay_alu instid0(VALU_DEP_1) | instskip(SKIP_1) | instid1(VALU_DEP_1)
	s_cmp_lg_u32 s2, 0
	s_add_co_ci_u32 s25, s25, s29
	v_readfirstlane_b32 s24, v4
	s_wait_alu 0xfffe
	s_delay_alu instid0(VALU_DEP_1)
	s_mul_u64 s[26:27], s[26:27], s[24:25]
	s_wait_alu 0xfffe
	s_mul_hi_u32 s29, s24, s27
	s_mul_i32 s28, s24, s27
	s_mul_hi_u32 s2, s24, s26
	s_mul_i32 s30, s25, s26
	s_wait_alu 0xfffe
	s_add_nc_u64 s[28:29], s[2:3], s[28:29]
	s_mul_hi_u32 s23, s25, s26
	s_mul_hi_u32 s24, s25, s27
	s_wait_alu 0xfffe
	s_add_co_u32 s2, s28, s30
	s_add_co_ci_u32 s2, s29, s23
	s_mul_i32 s26, s25, s27
	s_add_co_ci_u32 s27, s24, 0
	s_wait_alu 0xfffe
	s_add_nc_u64 s[26:27], s[2:3], s[26:27]
	s_wait_alu 0xfffe
	v_add_co_u32 v4, s2, v4, s26
	s_delay_alu instid0(VALU_DEP_1) | instskip(SKIP_1) | instid1(VALU_DEP_1)
	s_cmp_lg_u32 s2, 0
	s_add_co_ci_u32 s2, s25, s27
	v_mul_hi_u32 v13, v5, v4
	s_wait_alu 0xfffe
	v_mad_co_u64_u32 v[7:8], null, v5, s2, 0
	v_mad_co_u64_u32 v[9:10], null, v6, v4, 0
	;; [unrolled: 1-line block ×3, first 2 shown]
	s_delay_alu instid0(VALU_DEP_3) | instskip(SKIP_1) | instid1(VALU_DEP_4)
	v_add_co_u32 v4, vcc_lo, v13, v7
	s_wait_alu 0xfffd
	v_add_co_ci_u32_e32 v7, vcc_lo, 0, v8, vcc_lo
	s_delay_alu instid0(VALU_DEP_2) | instskip(SKIP_1) | instid1(VALU_DEP_2)
	v_add_co_u32 v4, vcc_lo, v4, v9
	s_wait_alu 0xfffd
	v_add_co_ci_u32_e32 v4, vcc_lo, v7, v10, vcc_lo
	s_wait_alu 0xfffd
	v_add_co_ci_u32_e32 v7, vcc_lo, 0, v12, vcc_lo
	s_delay_alu instid0(VALU_DEP_2) | instskip(SKIP_1) | instid1(VALU_DEP_2)
	v_add_co_u32 v4, vcc_lo, v4, v11
	s_wait_alu 0xfffd
	v_add_co_ci_u32_e32 v9, vcc_lo, 0, v7, vcc_lo
	s_delay_alu instid0(VALU_DEP_2) | instskip(SKIP_1) | instid1(VALU_DEP_3)
	v_mul_lo_u32 v10, s21, v4
	v_mad_co_u64_u32 v[7:8], null, s20, v4, 0
	v_mul_lo_u32 v11, s20, v9
	s_delay_alu instid0(VALU_DEP_2) | instskip(NEXT) | instid1(VALU_DEP_2)
	v_sub_co_u32 v7, vcc_lo, v5, v7
	v_add3_u32 v8, v8, v11, v10
	s_delay_alu instid0(VALU_DEP_1) | instskip(SKIP_1) | instid1(VALU_DEP_1)
	v_sub_nc_u32_e32 v10, v6, v8
	s_wait_alu 0xfffd
	v_subrev_co_ci_u32_e64 v10, s2, s21, v10, vcc_lo
	v_add_co_u32 v11, s2, v4, 2
	s_wait_alu 0xf1ff
	v_add_co_ci_u32_e64 v12, s2, 0, v9, s2
	v_sub_co_u32 v13, s2, v7, s20
	v_sub_co_ci_u32_e32 v8, vcc_lo, v6, v8, vcc_lo
	s_wait_alu 0xf1ff
	v_subrev_co_ci_u32_e64 v10, s2, 0, v10, s2
	s_delay_alu instid0(VALU_DEP_3) | instskip(NEXT) | instid1(VALU_DEP_3)
	v_cmp_le_u32_e32 vcc_lo, s20, v13
	v_cmp_eq_u32_e64 s2, s21, v8
	s_wait_alu 0xfffd
	v_cndmask_b32_e64 v13, 0, -1, vcc_lo
	v_cmp_le_u32_e32 vcc_lo, s21, v10
	s_wait_alu 0xfffd
	v_cndmask_b32_e64 v14, 0, -1, vcc_lo
	v_cmp_le_u32_e32 vcc_lo, s20, v7
	;; [unrolled: 3-line block ×3, first 2 shown]
	s_wait_alu 0xfffd
	v_cndmask_b32_e64 v15, 0, -1, vcc_lo
	v_cmp_eq_u32_e32 vcc_lo, s21, v10
	s_wait_alu 0xf1ff
	s_delay_alu instid0(VALU_DEP_2)
	v_cndmask_b32_e64 v7, v15, v7, s2
	s_wait_alu 0xfffd
	v_cndmask_b32_e32 v10, v14, v13, vcc_lo
	v_add_co_u32 v13, vcc_lo, v4, 1
	s_wait_alu 0xfffd
	v_add_co_ci_u32_e32 v14, vcc_lo, 0, v9, vcc_lo
	s_delay_alu instid0(VALU_DEP_3) | instskip(SKIP_2) | instid1(VALU_DEP_3)
	v_cmp_ne_u32_e32 vcc_lo, 0, v10
	s_wait_alu 0xfffd
	v_cndmask_b32_e32 v10, v13, v11, vcc_lo
	v_cndmask_b32_e32 v8, v14, v12, vcc_lo
	v_cmp_ne_u32_e32 vcc_lo, 0, v7
	s_wait_alu 0xfffd
	s_delay_alu instid0(VALU_DEP_2)
	v_dual_cndmask_b32 v7, v4, v10 :: v_dual_cndmask_b32 v8, v9, v8
.LBB0_4:                                ;   in Loop: Header=BB0_2 Depth=1
	s_wait_alu 0xfffe
	s_and_not1_saveexec_b32 s2, s22
	s_cbranch_execz .LBB0_6
; %bb.5:                                ;   in Loop: Header=BB0_2 Depth=1
	v_cvt_f32_u32_e32 v4, s20
	s_sub_co_i32 s22, 0, s20
	s_delay_alu instid0(VALU_DEP_1) | instskip(NEXT) | instid1(TRANS32_DEP_1)
	v_rcp_iflag_f32_e32 v4, v4
	v_mul_f32_e32 v4, 0x4f7ffffe, v4
	s_delay_alu instid0(VALU_DEP_1) | instskip(SKIP_1) | instid1(VALU_DEP_1)
	v_cvt_u32_f32_e32 v4, v4
	s_wait_alu 0xfffe
	v_mul_lo_u32 v7, s22, v4
	s_delay_alu instid0(VALU_DEP_1) | instskip(NEXT) | instid1(VALU_DEP_1)
	v_mul_hi_u32 v7, v4, v7
	v_add_nc_u32_e32 v4, v4, v7
	s_delay_alu instid0(VALU_DEP_1) | instskip(NEXT) | instid1(VALU_DEP_1)
	v_mul_hi_u32 v4, v5, v4
	v_mul_lo_u32 v7, v4, s20
	v_add_nc_u32_e32 v8, 1, v4
	s_delay_alu instid0(VALU_DEP_2) | instskip(NEXT) | instid1(VALU_DEP_1)
	v_sub_nc_u32_e32 v7, v5, v7
	v_subrev_nc_u32_e32 v9, s20, v7
	v_cmp_le_u32_e32 vcc_lo, s20, v7
	s_wait_alu 0xfffd
	s_delay_alu instid0(VALU_DEP_2) | instskip(NEXT) | instid1(VALU_DEP_1)
	v_dual_cndmask_b32 v7, v7, v9 :: v_dual_cndmask_b32 v4, v4, v8
	v_cmp_le_u32_e32 vcc_lo, s20, v7
	s_delay_alu instid0(VALU_DEP_2) | instskip(SKIP_1) | instid1(VALU_DEP_1)
	v_add_nc_u32_e32 v8, 1, v4
	s_wait_alu 0xfffd
	v_dual_cndmask_b32 v7, v4, v8 :: v_dual_mov_b32 v8, v3
.LBB0_6:                                ;   in Loop: Header=BB0_2 Depth=1
	s_wait_alu 0xfffe
	s_or_b32 exec_lo, exec_lo, s2
	s_load_b64 s[22:23], s[14:15], 0x0
	s_delay_alu instid0(VALU_DEP_1)
	v_mul_lo_u32 v4, v8, s20
	v_mul_lo_u32 v11, v7, s21
	v_mad_co_u64_u32 v[9:10], null, v7, s20, 0
	s_add_nc_u64 s[16:17], s[16:17], 1
	s_add_nc_u64 s[14:15], s[14:15], 8
	s_wait_alu 0xfffe
	v_cmp_ge_u64_e64 s2, s[16:17], s[6:7]
	s_add_nc_u64 s[18:19], s[18:19], 8
	s_delay_alu instid0(VALU_DEP_2) | instskip(NEXT) | instid1(VALU_DEP_3)
	v_add3_u32 v4, v10, v11, v4
	v_sub_co_u32 v5, vcc_lo, v5, v9
	s_wait_alu 0xfffd
	s_delay_alu instid0(VALU_DEP_2) | instskip(SKIP_3) | instid1(VALU_DEP_2)
	v_sub_co_ci_u32_e32 v4, vcc_lo, v6, v4, vcc_lo
	s_and_b32 vcc_lo, exec_lo, s2
	s_wait_kmcnt 0x0
	v_mul_lo_u32 v6, s23, v5
	v_mul_lo_u32 v4, s22, v4
	v_mad_co_u64_u32 v[1:2], null, s22, v5, v[1:2]
	s_delay_alu instid0(VALU_DEP_1)
	v_add3_u32 v2, v6, v2, v4
	s_wait_alu 0xfffe
	s_cbranch_vccnz .LBB0_8
; %bb.7:                                ;   in Loop: Header=BB0_2 Depth=1
	v_dual_mov_b32 v5, v7 :: v_dual_mov_b32 v6, v8
	s_branch .LBB0_2
.LBB0_8:
	s_lshl_b64 s[2:3], s[6:7], 3
	v_mul_hi_u32 v5, 0xf0f0f10, v0
	s_wait_alu 0xfffe
	s_add_nc_u64 s[2:3], s[12:13], s[2:3]
                                        ; implicit-def: $vgpr16_vgpr17
                                        ; implicit-def: $vgpr12_vgpr13
                                        ; implicit-def: $vgpr20_vgpr21
                                        ; implicit-def: $vgpr30_vgpr31
                                        ; implicit-def: $vgpr34_vgpr35
                                        ; implicit-def: $vgpr26_vgpr27
                                        ; implicit-def: $vgpr46_vgpr47
                                        ; implicit-def: $vgpr50_vgpr51
                                        ; implicit-def: $vgpr54_vgpr55
                                        ; implicit-def: $vgpr58_vgpr59
                                        ; implicit-def: $vgpr62_vgpr63
                                        ; implicit-def: $vgpr66_vgpr67
                                        ; implicit-def: $vgpr42_vgpr43
                                        ; implicit-def: $vgpr38_vgpr39
	s_load_b64 s[2:3], s[2:3], 0x0
	s_load_b64 s[0:1], s[0:1], 0x20
	s_wait_kmcnt 0x0
	v_mul_lo_u32 v3, s2, v8
	v_mul_lo_u32 v4, s3, v7
	v_mad_co_u64_u32 v[1:2], null, s2, v7, v[1:2]
	v_cmp_gt_u64_e32 vcc_lo, s[0:1], v[7:8]
                                        ; implicit-def: $vgpr8_vgpr9
	s_delay_alu instid0(VALU_DEP_2) | instskip(SKIP_1) | instid1(VALU_DEP_2)
	v_add3_u32 v2, v4, v2, v3
	v_mul_u32_u24_e32 v3, 17, v5
                                        ; implicit-def: $vgpr4_vgpr5
	v_lshlrev_b64_e32 v[70:71], 4, v[1:2]
	s_delay_alu instid0(VALU_DEP_2)
	v_sub_nc_u32_e32 v255, v0, v3
	s_and_saveexec_b32 s1, vcc_lo
	s_cbranch_execz .LBB0_10
; %bb.9:
	s_delay_alu instid0(VALU_DEP_1) | instskip(SKIP_3) | instid1(VALU_DEP_4)
	v_add_nc_u32_e32 v8, 17, v255
	v_mad_co_u64_u32 v[0:1], null, s8, v255, 0
	v_add_nc_u32_e32 v10, 34, v255
	v_add_nc_u32_e32 v11, 51, v255
	v_mad_co_u64_u32 v[2:3], null, s8, v8, 0
	v_add_co_u32 v63, s0, s10, v70
	s_delay_alu instid0(VALU_DEP_4) | instskip(SKIP_2) | instid1(VALU_DEP_4)
	v_mad_co_u64_u32 v[4:5], null, s8, v10, 0
	s_wait_alu 0xf1ff
	v_add_co_ci_u32_e64 v65, s0, s11, v71, s0
	v_mad_co_u64_u32 v[6:7], null, s9, v255, v[1:2]
	v_add_nc_u32_e32 v28, 0x66, v255
	v_add_nc_u32_e32 v36, 0x88, v255
	;; [unrolled: 1-line block ×6, first 2 shown]
	v_mov_b32_e32 v1, v6
	v_mad_co_u64_u32 v[7:8], null, s9, v8, v[3:4]
	v_mad_co_u64_u32 v[8:9], null, s8, v11, 0
	s_delay_alu instid0(VALU_DEP_3)
	v_lshlrev_b64_e32 v[0:1], 4, v[0:1]
	v_mad_co_u64_u32 v[32:33], null, s8, v36, 0
	v_mad_co_u64_u32 v[44:45], null, s8, v42, 0
	v_mov_b32_e32 v3, v7
	v_mad_co_u64_u32 v[5:6], null, s9, v10, v[5:6]
	v_mov_b32_e32 v6, v9
	v_add_co_u32 v0, s0, v63, v0
	s_delay_alu instid0(VALU_DEP_4) | instskip(SKIP_4) | instid1(VALU_DEP_4)
	v_lshlrev_b64_e32 v[2:3], 4, v[2:3]
	s_wait_alu 0xf1ff
	v_add_co_ci_u32_e64 v1, s0, v65, v1, s0
	v_mad_co_u64_u32 v[6:7], null, s9, v11, v[6:7]
	v_add_nc_u32_e32 v12, 0x44, v255
	v_add_co_u32 v10, s0, v63, v2
	s_wait_alu 0xf1ff
	v_add_co_ci_u32_e64 v11, s0, v65, v3, s0
	v_lshlrev_b64_e32 v[2:3], 4, v[4:5]
	v_mov_b32_e32 v9, v6
	v_mad_co_u64_u32 v[18:19], null, s8, v12, 0
	v_mad_co_u64_u32 v[50:51], null, s8, v54, 0
	s_delay_alu instid0(VALU_DEP_3) | instskip(SKIP_1) | instid1(VALU_DEP_4)
	v_lshlrev_b64_e32 v[5:6], 4, v[8:9]
	v_add_nc_u32_e32 v37, 0x99, v255
	v_dual_mov_b32 v4, v19 :: v_dual_add_nc_u32 v43, 0xbb, v255
	s_delay_alu instid0(VALU_DEP_2) | instskip(NEXT) | instid1(VALU_DEP_2)
	v_mad_co_u64_u32 v[40:41], null, s8, v37, 0
	v_mad_co_u64_u32 v[46:47], null, s8, v43, 0
	s_delay_alu instid0(VALU_DEP_3)
	v_mad_co_u64_u32 v[7:8], null, s9, v12, v[4:5]
	v_add_nc_u32_e32 v14, 0x55, v255
	v_add_co_u32 v12, s0, v63, v2
	s_wait_alu 0xf1ff
	v_add_co_ci_u32_e64 v13, s0, v65, v3, s0
	v_add_co_u32 v23, s0, v63, v5
	v_mov_b32_e32 v19, v7
	v_mad_co_u64_u32 v[20:21], null, s8, v14, 0
	s_wait_alu 0xf1ff
	v_add_co_ci_u32_e64 v24, s0, v65, v6, s0
	s_delay_alu instid0(VALU_DEP_2) | instskip(NEXT) | instid1(VALU_DEP_1)
	v_mov_b32_e32 v2, v21
	v_mad_co_u64_u32 v[25:26], null, s9, v14, v[2:3]
	s_clause 0x3
	global_load_b128 v[2:5], v[0:1], off
	global_load_b128 v[6:9], v[10:11], off
	;; [unrolled: 1-line block ×4, first 2 shown]
	v_mad_co_u64_u32 v[26:27], null, s8, v28, 0
	v_mad_co_u64_u32 v[23:24], null, s8, v29, 0
	v_lshlrev_b64_e32 v[0:1], 4, v[18:19]
	s_delay_alu instid0(VALU_DEP_3) | instskip(NEXT) | instid1(VALU_DEP_1)
	v_dual_mov_b32 v21, v25 :: v_dual_mov_b32 v18, v27
	v_lshlrev_b64_e32 v[19:20], 4, v[20:21]
	s_delay_alu instid0(VALU_DEP_3) | instskip(SKIP_1) | instid1(VALU_DEP_4)
	v_add_co_u32 v0, s0, v63, v0
	s_wait_alu 0xf1ff
	v_add_co_ci_u32_e64 v1, s0, v65, v1, s0
	s_delay_alu instid0(VALU_DEP_3) | instskip(SKIP_4) | instid1(VALU_DEP_3)
	v_mad_co_u64_u32 v[27:28], null, s9, v28, v[18:19]
	v_mov_b32_e32 v18, v24
	v_add_co_u32 v24, s0, v63, v19
	s_wait_alu 0xf1ff
	v_add_co_ci_u32_e64 v25, s0, v65, v20, s0
	v_mad_co_u64_u32 v[34:35], null, s9, v29, v[18:19]
	s_clause 0x1
	global_load_b128 v[18:21], v[0:1], off
	global_load_b128 v[28:31], v[24:25], off
	v_lshlrev_b64_e32 v[0:1], 4, v[26:27]
	v_mad_co_u64_u32 v[25:26], null, s9, v36, v[33:34]
	v_mov_b32_e32 v26, v41
	v_mov_b32_e32 v24, v34
	s_delay_alu instid0(VALU_DEP_4)
	v_add_co_u32 v0, s0, v63, v0
	s_wait_alu 0xf1ff
	v_add_co_ci_u32_e64 v1, s0, v65, v1, s0
	v_mov_b32_e32 v33, v25
	v_mad_co_u64_u32 v[25:26], null, s9, v37, v[26:27]
	v_lshlrev_b64_e32 v[23:24], 4, v[23:24]
	s_delay_alu instid0(VALU_DEP_3) | instskip(NEXT) | instid1(VALU_DEP_2)
	v_lshlrev_b64_e32 v[26:27], 4, v[32:33]
	v_add_co_u32 v23, s0, v63, v23
	s_delay_alu instid0(VALU_DEP_4) | instskip(SKIP_1) | instid1(VALU_DEP_4)
	v_mov_b32_e32 v41, v25
	s_wait_alu 0xf1ff
	v_add_co_ci_u32_e64 v24, s0, v65, v24, s0
	s_clause 0x1
	global_load_b128 v[36:39], v[0:1], off
	global_load_b128 v[32:35], v[23:24], off
	v_mov_b32_e32 v23, v45
	v_lshlrev_b64_e32 v[24:25], 4, v[40:41]
	v_add_co_u32 v0, s0, v63, v26
	s_wait_alu 0xf1ff
	v_add_co_ci_u32_e64 v1, s0, v65, v27, s0
	s_delay_alu instid0(VALU_DEP_3) | instskip(SKIP_4) | instid1(VALU_DEP_3)
	v_mad_co_u64_u32 v[26:27], null, s9, v42, v[23:24]
	v_mov_b32_e32 v23, v47
	v_add_co_u32 v40, s0, v63, v24
	s_wait_alu 0xf1ff
	v_add_co_ci_u32_e64 v41, s0, v65, v25, s0
	v_mad_co_u64_u32 v[23:24], null, s9, v43, v[23:24]
	v_dual_mov_b32 v45, v26 :: v_dual_add_nc_u32 v52, 0xcc, v255
	s_clause 0x1
	global_load_b128 v[24:27], v[0:1], off
	global_load_b128 v[40:43], v[40:41], off
	v_mov_b32_e32 v47, v23
	v_mad_co_u64_u32 v[48:49], null, s8, v52, 0
	v_add_nc_u32_e32 v23, 0xee, v255
	v_lshlrev_b64_e32 v[44:45], 4, v[44:45]
	s_delay_alu instid0(VALU_DEP_4) | instskip(NEXT) | instid1(VALU_DEP_4)
	v_lshlrev_b64_e32 v[46:47], 4, v[46:47]
	v_mov_b32_e32 v0, v49
	s_delay_alu instid0(VALU_DEP_3) | instskip(SKIP_1) | instid1(VALU_DEP_4)
	v_add_co_u32 v44, s0, v63, v44
	s_wait_alu 0xf1ff
	v_add_co_ci_u32_e64 v45, s0, v65, v45, s0
	s_delay_alu instid0(VALU_DEP_3)
	v_mad_co_u64_u32 v[0:1], null, s9, v52, v[0:1]
	v_mov_b32_e32 v1, v51
	v_mad_co_u64_u32 v[52:53], null, s8, v23, 0
	v_add_co_u32 v57, s0, v63, v46
	s_wait_alu 0xf1ff
	v_add_co_ci_u32_e64 v58, s0, v65, v47, s0
	v_mov_b32_e32 v49, v0
	s_delay_alu instid0(VALU_DEP_1) | instskip(SKIP_4) | instid1(VALU_DEP_3)
	v_lshlrev_b64_e32 v[46:47], 4, v[48:49]
	s_wait_loadcnt 0x9
	v_mad_co_u64_u32 v[54:55], null, s9, v54, v[1:2]
	v_mad_co_u64_u32 v[55:56], null, s8, v59, 0
	v_mov_b32_e32 v1, v53
	v_mov_b32_e32 v51, v54
	s_delay_alu instid0(VALU_DEP_2) | instskip(NEXT) | instid1(VALU_DEP_4)
	v_mad_co_u64_u32 v[0:1], null, s9, v23, v[1:2]
	v_mov_b32_e32 v1, v56
	s_delay_alu instid0(VALU_DEP_1) | instskip(NEXT) | instid1(VALU_DEP_3)
	v_mad_co_u64_u32 v[48:49], null, s9, v59, v[1:2]
	v_mov_b32_e32 v53, v0
	v_lshlrev_b64_e32 v[49:50], 4, v[50:51]
	v_add_co_u32 v0, s0, v63, v46
	s_wait_alu 0xf1ff
	v_add_co_ci_u32_e64 v1, s0, v65, v47, s0
	v_mov_b32_e32 v56, v48
	v_lshlrev_b64_e32 v[46:47], 4, v[52:53]
	v_add_co_u32 v59, s0, v63, v49
	s_wait_alu 0xf1ff
	v_add_co_ci_u32_e64 v60, s0, v65, v50, s0
	v_lshlrev_b64_e32 v[48:49], 4, v[55:56]
	s_delay_alu instid0(VALU_DEP_4) | instskip(SKIP_2) | instid1(VALU_DEP_3)
	v_add_co_u32 v61, s0, v63, v46
	s_wait_alu 0xf1ff
	v_add_co_ci_u32_e64 v62, s0, v65, v47, s0
	v_add_co_u32 v64, s0, v63, v48
	s_wait_alu 0xf1ff
	v_add_co_ci_u32_e64 v65, s0, v65, v49, s0
	s_clause 0x5
	global_load_b128 v[44:47], v[44:45], off
	global_load_b128 v[48:51], v[57:58], off
	;; [unrolled: 1-line block ×6, first 2 shown]
.LBB0_10:
	s_wait_alu 0xfffe
	s_or_b32 exec_lo, exec_lo, s1
	s_wait_loadcnt 0x7
	v_add_f64_e64 v[0:1], v[2:3], -v[24:25]
	s_wait_loadcnt 0x1
	v_add_f64_e64 v[23:24], v[38:39], -v[62:63]
	v_add_f64_e64 v[40:41], v[6:7], -v[40:41]
	;; [unrolled: 1-line block ×4, first 2 shown]
	s_wait_loadcnt 0x0
	v_add_f64_e64 v[62:63], v[34:35], -v[66:67]
	v_add_f64_e64 v[66:67], v[30:31], -v[58:59]
	;; [unrolled: 1-line block ×10, first 2 shown]
	s_mov_b32 s0, 0x667f3bcd
	s_mov_b32 s1, 0x3fe6a09e
	;; [unrolled: 1-line block ×3, first 2 shown]
	s_wait_alu 0xfffe
	s_mov_b32 s16, s0
	s_mov_b32 s6, 0xcf328d46
	;; [unrolled: 1-line block ×7, first 2 shown]
	s_wait_alu 0xfffe
	s_mov_b32 s2, s6
	s_mov_b32 s14, s12
	v_fma_f64 v[2:3], v[2:3], 2.0, -v[0:1]
	v_add_f64_e64 v[68:69], v[0:1], -v[54:55]
	v_add_f64_e64 v[74:75], v[44:45], -v[23:24]
	v_fma_f64 v[34:35], v[34:35], 2.0, -v[62:63]
	v_add_f64_e64 v[76:77], v[40:41], -v[66:67]
	v_add_f64_e64 v[72:73], v[48:49], -v[62:63]
	v_fma_f64 v[18:19], v[18:19], 2.0, -v[58:59]
	v_fma_f64 v[56:57], v[16:17], 2.0, -v[46:47]
	v_fma_f64 v[16:17], v[38:39], 2.0, -v[23:24]
	v_fma_f64 v[23:24], v[6:7], 2.0, -v[40:41]
	v_fma_f64 v[28:29], v[28:29], 2.0, -v[52:53]
	v_fma_f64 v[12:13], v[12:13], 2.0, -v[50:51]
	v_fma_f64 v[14:15], v[14:15], 2.0, -v[44:45]
	v_fma_f64 v[36:37], v[36:37], 2.0, -v[60:61]
	v_fma_f64 v[10:11], v[10:11], 2.0, -v[48:49]
	v_fma_f64 v[32:33], v[32:33], 2.0, -v[64:65]
	v_add_f64_e32 v[38:39], v[52:53], v[42:43]
	v_add_f64_e32 v[52:53], v[46:47], v[60:61]
	;; [unrolled: 1-line block ×3, first 2 shown]
	v_fma_f64 v[8:9], v[8:9], 2.0, -v[42:43]
	v_fma_f64 v[30:31], v[30:31], 2.0, -v[66:67]
	;; [unrolled: 1-line block ×4, first 2 shown]
	v_fma_f64 v[62:63], v[74:75], s[0:1], v[68:69]
	v_fma_f64 v[40:41], v[40:41], 2.0, -v[76:77]
	v_fma_f64 v[48:49], v[48:49], 2.0, -v[72:73]
	v_add_f64_e64 v[18:19], v[2:3], -v[18:19]
	v_add_f64_e64 v[6:7], v[56:57], -v[16:17]
	v_add_f64_e64 v[16:17], v[23:24], -v[28:29]
	v_add_f64_e64 v[64:65], v[12:13], -v[34:35]
	v_add_f64_e64 v[28:29], v[14:15], -v[36:37]
	v_add_f64_e64 v[34:35], v[10:11], -v[32:33]
	v_fma_f64 v[42:43], v[42:43], 2.0, -v[38:39]
	v_fma_f64 v[78:79], v[46:47], 2.0, -v[52:53]
	v_fma_f64 v[32:33], v[50:51], 2.0, -v[60:61]
	v_fma_f64 v[50:51], v[72:73], s[0:1], v[76:77]
	v_add_f64_e64 v[66:67], v[8:9], -v[30:31]
	v_fma_f64 v[80:81], v[60:61], s[0:1], v[38:39]
	v_mul_f64_e32 v[88:89], s[0:1], v[52:53]
	v_fma_f64 v[36:37], v[44:45], s[16:17], v[0:1]
	v_fma_f64 v[90:91], v[52:53], s[16:17], v[62:63]
	v_mul_f64_e32 v[86:87], s[0:1], v[44:45]
	v_fma_f64 v[46:47], v[48:49], s[16:17], v[40:41]
	v_fma_f64 v[2:3], v[2:3], 2.0, -v[18:19]
	v_add_f64_e64 v[82:83], v[18:19], -v[6:7]
	v_fma_f64 v[23:24], v[23:24], 2.0, -v[16:17]
	v_add_f64_e64 v[92:93], v[16:17], -v[64:65]
	v_fma_f64 v[14:15], v[14:15], 2.0, -v[28:29]
	v_fma_f64 v[10:11], v[10:11], 2.0, -v[34:35]
	v_fma_f64 v[84:85], v[32:33], s[16:17], v[42:43]
	v_add_f64_e32 v[96:97], v[34:35], v[66:67]
	v_fma_f64 v[34:35], v[72:73], s[0:1], v[80:81]
	v_fma_f64 v[72:73], v[8:9], 2.0, -v[66:67]
	v_fma_f64 v[8:9], v[12:13], 2.0, -v[64:65]
	v_fma_f64 v[94:95], v[78:79], s[16:17], v[36:37]
	v_fma_f64 v[98:99], v[68:69], 2.0, -v[90:91]
	v_fma_f64 v[30:31], v[32:33], s[16:17], v[46:47]
	v_fma_f64 v[32:33], v[60:61], s[16:17], v[50:51]
	v_fma_f64 v[18:19], v[18:19], 2.0, -v[82:83]
	v_fma_f64 v[100:101], v[16:17], 2.0, -v[92:93]
	v_add_f64_e64 v[16:17], v[2:3], -v[14:15]
	v_add_f64_e64 v[62:63], v[23:24], -v[10:11]
	v_fma_f64 v[64:65], v[48:49], s[0:1], v[84:85]
	v_mul_f64_e32 v[84:85], s[0:1], v[74:75]
	v_fma_f64 v[104:105], v[66:67], 2.0, -v[96:97]
	v_fma_f64 v[66:67], v[38:39], 2.0, -v[34:35]
	v_add_f64_e64 v[80:81], v[72:73], -v[8:9]
	v_fma_f64 v[102:103], v[0:1], 2.0, -v[94:95]
	v_fma_f64 v[0:1], v[92:93], s[0:1], v[82:83]
	v_fma_f64 v[36:37], v[40:41], 2.0, -v[30:31]
	v_fma_f64 v[60:61], v[76:77], 2.0, -v[32:33]
	s_wait_alu 0xfffe
	v_fma_f64 v[10:11], v[32:33], s[2:3], v[90:91]
	v_fma_f64 v[14:15], v[30:31], s[14:15], v[94:95]
	v_mul_f64_e32 v[76:77], s[0:1], v[92:93]
	v_lshlrev_b32_e32 v92, 3, v255
	v_fma_f64 v[38:39], v[100:101], s[16:17], v[18:19]
	v_mul_f64_e32 v[74:75], s[0:1], v[100:101]
	v_fma_f64 v[2:3], v[2:3], 2.0, -v[16:17]
	v_fma_f64 v[23:24], v[23:24], 2.0, -v[62:63]
	;; [unrolled: 1-line block ×3, first 2 shown]
	v_add_f64_e64 v[12:13], v[16:17], -v[80:81]
	v_fma_f64 v[8:9], v[96:97], s[16:17], v[0:1]
	v_mul_hi_u32 v0, 0x24924925, v22
	v_fma_f64 v[40:41], v[36:37], s[6:7], v[102:103]
	v_fma_f64 v[42:43], v[60:61], s[12:13], v[98:99]
	;; [unrolled: 1-line block ×5, first 2 shown]
	v_sub_nc_u32_e32 v1, v22, v0
	v_add_f64_e64 v[46:47], v[2:3], -v[23:24]
                                        ; implicit-def: $vgpr24_vgpr25
	s_delay_alu instid0(VALU_DEP_2) | instskip(NEXT) | instid1(VALU_DEP_1)
	v_lshrrev_b32_e32 v1, 1, v1
	v_add_nc_u32_e32 v0, v1, v0
	s_delay_alu instid0(VALU_DEP_1) | instskip(NEXT) | instid1(VALU_DEP_1)
	v_lshrrev_b32_e32 v0, 2, v0
	v_mul_lo_u32 v0, v0, 7
	s_delay_alu instid0(VALU_DEP_1)
	v_sub_nc_u32_e32 v0, v22, v0
	v_fma_f64 v[50:51], v[82:83], 2.0, -v[8:9]
	v_mul_f64_e32 v[82:83], s[0:1], v[96:97]
	v_fma_f64 v[48:49], v[68:69], s[12:13], v[40:41]
	v_fma_f64 v[40:41], v[66:67], s[6:7], v[42:43]
	v_fma_f64 v[42:43], v[16:17], 2.0, -v[12:13]
	v_fma_f64 v[44:45], v[94:95], 2.0, -v[14:15]
	;; [unrolled: 1-line block ×3, first 2 shown]
	v_mul_f64_e32 v[90:91], s[0:1], v[78:79]
	v_fma_f64 v[16:17], v[18:19], 2.0, -v[38:39]
	v_mul_f64_e32 v[78:79], s[0:1], v[104:105]
	v_lshl_add_u32 v22, v255, 7, 0
	v_mul_u32_u24_e32 v0, 0x110, v0
	v_fma_f64 v[107:108], v[2:3], 2.0, -v[46:47]
	v_cmp_gt_u32_e64 s0, 16, v255
	s_delay_alu instid0(VALU_DEP_3)
	v_lshl_add_u32 v94, v0, 3, v22
	v_lshlrev_b32_e32 v93, 3, v0
	v_fma_f64 v[109:110], v[102:103], 2.0, -v[48:49]
	v_fma_f64 v[18:19], v[98:99], 2.0, -v[40:41]
	ds_store_b128 v94, v[12:15] offset:96
	ds_store_b128 v94, v[8:11] offset:112
	;; [unrolled: 1-line block ×6, first 2 shown]
	ds_store_b128 v94, v[107:110]
	ds_store_b128 v94, v[16:19] offset:16
	global_wb scope:SCOPE_SE
	s_wait_dscnt 0x0
	s_barrier_signal -1
	s_barrier_wait -1
	global_inv scope:SCOPE_SE
	s_and_saveexec_b32 s1, s0
	s_cbranch_execz .LBB0_12
; %bb.11:
	v_mul_i32_i24_e32 v0, 0xffffff88, v255
	s_delay_alu instid0(VALU_DEP_1)
	v_add3_u32 v0, v22, v0, v93
	ds_load_2addr_b64 v[8:11], v0 offset0:16 offset1:32
	ds_load_2addr_b64 v[12:15], v0 offset0:48 offset1:64
	ds_load_2addr_b64 v[48:51], v0 offset0:80 offset1:96
	ds_load_2addr_b64 v[38:41], v0 offset0:112 offset1:128
	ds_load_2addr_b64 v[95:98], v0 offset0:144 offset1:160
	ds_load_2addr_b64 v[99:102], v0 offset0:176 offset1:192
	s_wait_dscnt 0x5
	v_dual_mov_b32 v110, v9 :: v_dual_add_nc_u32 v1, 0x400, v0
	ds_load_2addr_b64 v[103:106], v0 offset0:208 offset1:224
	ds_load_2addr_b64 v[22:25], v1 offset0:112 offset1:128
	v_add3_u32 v0, 0, v93, v92
	s_wait_dscnt 0x5
	v_dual_mov_b32 v43, v15 :: v_dual_mov_b32 v44, v48
	s_wait_dscnt 0x4
	v_mov_b32_e32 v53, v39
	v_dual_mov_b32 v45, v49 :: v_dual_mov_b32 v52, v38
	ds_load_b64 v[107:108], v0
	s_wait_dscnt 0x4
	v_dual_mov_b32 v47, v41 :: v_dual_mov_b32 v38, v97
	v_dual_mov_b32 v19, v13 :: v_dual_mov_b32 v42, v14
	v_dual_mov_b32 v46, v40 :: v_dual_mov_b32 v39, v98
	s_wait_dscnt 0x3
	v_dual_mov_b32 v40, v99 :: v_dual_mov_b32 v17, v11
	v_dual_mov_b32 v18, v12 :: v_dual_mov_b32 v41, v100
	v_dual_mov_b32 v12, v101 :: v_dual_mov_b32 v13, v102
	s_wait_dscnt 0x2
	v_dual_mov_b32 v14, v103 :: v_dual_mov_b32 v109, v8
	v_dual_mov_b32 v16, v10 :: v_dual_mov_b32 v15, v104
	v_dual_mov_b32 v8, v105 :: v_dual_mov_b32 v9, v106
	v_dual_mov_b32 v48, v95 :: v_dual_mov_b32 v49, v96
	s_wait_dscnt 0x1
	v_dual_mov_b32 v10, v22 :: v_dual_mov_b32 v11, v23
.LBB0_12:
	s_wait_alu 0xfffe
	s_or_b32 exec_lo, exec_lo, s1
	v_add_f64_e64 v[22:23], v[4:5], -v[26:27]
	v_fma_f64 v[20:21], v[20:21], 2.0, -v[54:55]
	v_fma_f64 v[6:7], v[56:57], 2.0, -v[6:7]
	global_wb scope:SCOPE_SE
	s_wait_dscnt 0x0
	s_barrier_signal -1
	s_barrier_wait -1
	global_inv scope:SCOPE_SE
	v_add_f64_e32 v[26:27], v[58:59], v[22:23]
	v_fma_f64 v[4:5], v[4:5], 2.0, -v[22:23]
	s_delay_alu instid0(VALU_DEP_2) | instskip(NEXT) | instid1(VALU_DEP_2)
	v_fma_f64 v[22:23], v[22:23], 2.0, -v[26:27]
	v_add_f64_e64 v[20:21], v[4:5], -v[20:21]
	v_add_f64_e32 v[58:59], v[26:27], v[88:89]
	s_delay_alu instid0(VALU_DEP_3) | instskip(NEXT) | instid1(VALU_DEP_3)
	v_add_f64_e64 v[54:55], v[22:23], -v[90:91]
	v_fma_f64 v[4:5], v[4:5], 2.0, -v[20:21]
	v_add_f64_e32 v[88:89], v[28:29], v[20:21]
	s_delay_alu instid0(VALU_DEP_4) | instskip(NEXT) | instid1(VALU_DEP_4)
	v_add_f64_e32 v[84:85], v[84:85], v[58:59]
	v_add_f64_e32 v[86:87], v[86:87], v[54:55]
	s_delay_alu instid0(VALU_DEP_4) | instskip(NEXT) | instid1(VALU_DEP_4)
	v_add_f64_e64 v[6:7], v[4:5], -v[6:7]
	v_fma_f64 v[90:91], v[20:21], 2.0, -v[88:89]
	s_delay_alu instid0(VALU_DEP_4)
	v_fma_f64 v[97:98], v[26:27], 2.0, -v[84:85]
	v_fma_f64 v[54:55], v[72:73], 2.0, -v[80:81]
	v_add_f64_e32 v[20:21], v[82:83], v[88:89]
	v_fma_f64 v[34:35], v[34:35], s[2:3], v[84:85]
	v_fma_f64 v[95:96], v[22:23], 2.0, -v[86:87]
	v_fma_f64 v[22:23], v[64:65], s[14:15], v[86:87]
	v_fma_f64 v[4:5], v[4:5], 2.0, -v[6:7]
	v_add_f64_e64 v[56:57], v[90:91], -v[78:79]
	v_fma_f64 v[64:65], v[66:67], s[12:13], v[97:98]
	v_add_f64_e32 v[26:27], v[62:63], v[6:7]
	v_add_f64_e32 v[20:21], v[76:77], v[20:21]
	v_fma_f64 v[58:59], v[68:69], s[6:7], v[95:96]
	v_fma_f64 v[28:29], v[30:31], s[2:3], v[22:23]
	;; [unrolled: 1-line block ×3, first 2 shown]
	v_add_f64_e64 v[66:67], v[4:5], -v[54:55]
	v_add_f64_e32 v[54:55], v[74:75], v[56:57]
	v_fma_f64 v[56:57], v[60:61], s[2:3], v[64:65]
	v_fma_f64 v[62:63], v[88:89], 2.0, -v[20:21]
	v_fma_f64 v[68:69], v[36:37], s[14:15], v[58:59]
	v_fma_f64 v[58:59], v[6:7], 2.0, -v[26:27]
	v_fma_f64 v[60:61], v[86:87], 2.0, -v[28:29]
	;; [unrolled: 1-line block ×6, first 2 shown]
                                        ; implicit-def: $vgpr36_vgpr37
	v_fma_f64 v[4:5], v[95:96], 2.0, -v[68:69]
	ds_store_b128 v94, v[26:29] offset:96
	ds_store_b128 v94, v[20:23] offset:112
	;; [unrolled: 1-line block ×6, first 2 shown]
	ds_store_b128 v94, v[2:5]
	ds_store_b128 v94, v[30:33] offset:16
	global_wb scope:SCOPE_SE
	s_wait_dscnt 0x0
	s_barrier_signal -1
	s_barrier_wait -1
	global_inv scope:SCOPE_SE
	s_and_saveexec_b32 s1, s0
	s_cbranch_execnz .LBB0_15
; %bb.13:
	s_wait_alu 0xfffe
	s_or_b32 exec_lo, exec_lo, s1
	s_and_b32 s0, vcc_lo, s0
	s_wait_alu 0xfffe
	s_and_saveexec_b32 s1, s0
	s_cbranch_execnz .LBB0_16
.LBB0_14:
	s_endpgm
.LBB0_15:
	v_add3_u32 v0, 0, v92, v93
	ds_load_2addr_b64 v[20:23], v0 offset0:112 offset1:128
	ds_load_2addr_b64 v[30:33], v0 offset0:144 offset1:160
	;; [unrolled: 1-line block ×5, first 2 shown]
	v_add_nc_u32_e32 v1, 0x400, v0
	s_wait_dscnt 0x4
	v_dual_mov_b32 v65, v21 :: v_dual_mov_b32 v64, v20
	ds_load_2addr_b64 v[76:79], v0 offset0:48 offset1:64
	ds_load_2addr_b64 v[80:83], v0 offset0:16 offset1:32
	;; [unrolled: 1-line block ×3, first 2 shown]
	v_add3_u32 v0, 0, v93, v92
	s_wait_dscnt 0x5
	v_mov_b32_e32 v57, v27
	v_dual_mov_b32 v55, v33 :: v_dual_mov_b32 v56, v26
	v_mov_b32_e32 v26, v28
	ds_load_b64 v[2:3], v0
	s_wait_dscnt 0x5
	v_dual_mov_b32 v27, v29 :: v_dual_mov_b32 v28, v58
	v_dual_mov_b32 v29, v59 :: v_dual_mov_b32 v20, v60
	s_wait_dscnt 0x4
	v_dual_mov_b32 v69, v31 :: v_dual_mov_b32 v62, v74
	v_dual_mov_b32 v21, v61 :: v_dual_mov_b32 v68, v30
	v_dual_mov_b32 v63, v75 :: v_dual_mov_b32 v60, v72
	s_wait_dscnt 0x3
	v_dual_mov_b32 v61, v73 :: v_dual_mov_b32 v58, v78
	;; [unrolled: 4-line block ×3, first 2 shown]
	v_dual_mov_b32 v66, v22 :: v_dual_mov_b32 v31, v83
	s_wait_dscnt 0x1
	v_dual_mov_b32 v22, v34 :: v_dual_mov_b32 v23, v35
	v_dual_mov_b32 v4, v80 :: v_dual_mov_b32 v5, v81
	s_wait_alu 0xfffe
	s_or_b32 exec_lo, exec_lo, s1
	s_and_b32 s0, vcc_lo, s0
	s_wait_alu 0xfffe
	s_and_saveexec_b32 s1, s0
	s_cbranch_execz .LBB0_14
.LBB0_16:
	v_dual_mov_b32 v35, 0 :: v_dual_lshlrev_b32 v34, 4, v255
	s_mov_b32 s2, 0x370991
	s_mov_b32 s3, 0x3fedd6d0
	s_mov_b32 s0, 0x75d4884
	s_mov_b32 s1, 0x3fe7a5f6
	v_lshlrev_b64_e32 v[34:35], 4, v[34:35]
	s_mov_b32 s18, 0x2a9d6da3
	s_mov_b32 s19, 0xbfe58eea
	;; [unrolled: 1-line block ×5, first 2 shown]
	v_add_co_u32 v90, vcc_lo, s4, v34
	s_wait_alu 0xfffd
	v_add_co_ci_u32_e32 v91, vcc_lo, s5, v35, vcc_lo
	s_mov_b32 s4, 0x5d8e7cdc
	s_mov_b32 s5, 0xbfd71e95
	s_clause 0x1
	global_load_b128 v[72:75], v[90:91], off offset:112
	global_load_b128 v[76:79], v[90:91], off offset:96
	s_mov_b32 s13, 0xbfeca52d
	s_mov_b32 s42, 0xeb564b22
	;; [unrolled: 1-line block ×8, first 2 shown]
	s_wait_alu 0xfffe
	s_mov_b32 s24, s16
	s_mov_b32 s20, 0x6ed5f1bb
	s_mov_b32 s21, 0xbfe348c8
	s_mov_b32 s22, 0x6c9a05f6
	s_mov_b32 s23, 0x3fe9895b
	s_mov_b32 s39, 0xbfe9895b
	s_wait_alu 0xfffe
	s_mov_b32 s38, s22
	s_mov_b32 s26, 0x910ea3b9
	s_mov_b32 s27, 0xbfeb34fa
	s_mov_b32 s28, 0x4363dd80
	s_mov_b32 s29, 0x3fe0d888
	s_mov_b32 s37, 0xbfe0d888
	s_wait_alu 0xfffe
	s_mov_b32 s36, s28
	s_mov_b32 s30, 0x7faef3
	s_mov_b32 s31, 0xbfef7484
	s_mov_b32 s34, 0xacd6c6b4
	s_mov_b32 s35, 0x3fc7851a
	s_mov_b32 s41, 0xbfc7851a
	s_mov_b32 s40, s34
	s_mov_b32 s45, 0x3feca52d
	;; [unrolled: 1-line block ×9, first 2 shown]
	s_wait_loadcnt 0x1
	v_mul_f64_e32 v[34:35], v[66:67], v[72:73]
	v_mul_f64_e32 v[66:67], v[66:67], v[74:75]
	s_delay_alu instid0(VALU_DEP_2) | instskip(NEXT) | instid1(VALU_DEP_2)
	v_fma_f64 v[34:35], v[46:47], v[74:75], v[34:35]
	v_fma_f64 v[46:47], v[46:47], v[72:73], -v[66:67]
	s_clause 0x1
	global_load_b128 v[72:75], v[90:91], off offset:128
	global_load_b128 v[80:83], v[90:91], off offset:144
	s_wait_loadcnt 0x1
	v_mul_f64_e32 v[66:67], v[68:69], v[72:73]
	v_mul_f64_e32 v[68:69], v[68:69], v[74:75]
	s_delay_alu instid0(VALU_DEP_2) | instskip(NEXT) | instid1(VALU_DEP_2)
	v_fma_f64 v[66:67], v[48:49], v[74:75], v[66:67]
	v_fma_f64 v[68:69], v[48:49], v[72:73], -v[68:69]
	v_mul_f64_e32 v[48:49], v[64:65], v[76:77]
	v_mul_f64_e32 v[64:65], v[64:65], v[78:79]
	s_delay_alu instid0(VALU_DEP_4) | instskip(NEXT) | instid1(VALU_DEP_4)
	v_add_f64_e64 v[118:119], v[34:35], -v[66:67]
	v_add_f64_e64 v[239:240], v[46:47], -v[68:69]
	s_delay_alu instid0(VALU_DEP_4) | instskip(NEXT) | instid1(VALU_DEP_4)
	v_fma_f64 v[94:95], v[52:53], v[78:79], v[48:49]
	v_fma_f64 v[64:65], v[52:53], v[76:77], -v[64:65]
	s_clause 0x1
	global_load_b128 v[72:75], v[90:91], off offset:80
	global_load_b128 v[76:79], v[90:91], off offset:64
	s_wait_loadcnt 0x1
	v_mul_f64_e32 v[52:53], v[62:63], v[72:73]
	v_mul_f64_e32 v[62:63], v[62:63], v[74:75]
	s_delay_alu instid0(VALU_DEP_2) | instskip(NEXT) | instid1(VALU_DEP_2)
	v_fma_f64 v[52:53], v[50:51], v[74:75], v[52:53]
	v_fma_f64 v[50:51], v[50:51], v[72:73], -v[62:63]
	v_mul_f64_e32 v[62:63], v[54:55], v[80:81]
	v_mul_f64_e32 v[54:55], v[54:55], v[82:83]
	s_delay_alu instid0(VALU_DEP_2) | instskip(NEXT) | instid1(VALU_DEP_2)
	v_fma_f64 v[98:99], v[38:39], v[82:83], v[62:63]
	v_fma_f64 v[38:39], v[38:39], v[80:81], -v[54:55]
	s_clause 0x1
	global_load_b128 v[72:75], v[90:91], off offset:160
	global_load_b128 v[80:83], v[90:91], off offset:176
	v_add_f64_e32 v[241:242], v[94:95], v[98:99]
	s_wait_loadcnt 0x1
	v_mul_f64_e32 v[54:55], v[56:57], v[72:73]
	v_mul_f64_e32 v[56:57], v[56:57], v[74:75]
	s_delay_alu instid0(VALU_DEP_2) | instskip(NEXT) | instid1(VALU_DEP_2)
	v_fma_f64 v[54:55], v[40:41], v[74:75], v[54:55]
	v_fma_f64 v[56:57], v[40:41], v[72:73], -v[56:57]
	v_mul_f64_e32 v[40:41], v[60:61], v[76:77]
	v_mul_f64_e32 v[60:61], v[60:61], v[78:79]
	s_delay_alu instid0(VALU_DEP_4) | instskip(SKIP_1) | instid1(VALU_DEP_4)
	v_add_f64_e32 v[126:127], v[52:53], v[54:55]
	v_add_f64_e64 v[128:129], v[52:53], -v[54:55]
	v_fma_f64 v[40:41], v[44:45], v[78:79], v[40:41]
	s_delay_alu instid0(VALU_DEP_4)
	v_fma_f64 v[96:97], v[44:45], v[76:77], -v[60:61]
	s_clause 0x1
	global_load_b128 v[72:75], v[90:91], off offset:48
	global_load_b128 v[76:79], v[90:91], off offset:32
	v_mul_f64_e32 v[62:63], s[0:1], v[126:127]
	v_mul_f64_e32 v[228:229], s[18:19], v[128:129]
	;; [unrolled: 1-line block ×3, first 2 shown]
	s_wait_loadcnt 0x1
	v_mul_f64_e32 v[44:45], v[58:59], v[72:73]
	v_mul_f64_e32 v[58:59], v[58:59], v[74:75]
	s_delay_alu instid0(VALU_DEP_2) | instskip(NEXT) | instid1(VALU_DEP_2)
	v_fma_f64 v[44:45], v[42:43], v[74:75], v[44:45]
	v_fma_f64 v[42:43], v[42:43], v[72:73], -v[58:59]
	v_mul_f64_e32 v[58:59], v[26:27], v[80:81]
	v_mul_f64_e32 v[26:27], v[26:27], v[82:83]
	s_delay_alu instid0(VALU_DEP_2)
	v_fma_f64 v[58:59], v[12:13], v[82:83], v[58:59]
	s_clause 0x1
	global_load_b128 v[72:75], v[90:91], off offset:192
	global_load_b128 v[82:85], v[90:91], off offset:208
	v_fma_f64 v[0:1], v[12:13], v[80:81], -v[26:27]
	v_add_f64_e32 v[112:113], v[40:41], v[58:59]
	s_delay_alu instid0(VALU_DEP_2) | instskip(NEXT) | instid1(VALU_DEP_2)
	v_add_f64_e32 v[116:117], v[96:97], v[0:1]
	v_mul_f64_e32 v[120:121], s[2:3], v[112:113]
	s_wait_loadcnt 0x1
	v_mul_f64_e32 v[12:13], v[28:29], v[72:73]
	v_mul_f64_e32 v[80:81], v[28:29], v[74:75]
	v_add_f64_e64 v[28:29], v[94:95], -v[98:99]
	s_delay_alu instid0(VALU_DEP_3) | instskip(SKIP_1) | instid1(VALU_DEP_4)
	v_fma_f64 v[26:27], v[14:15], v[74:75], v[12:13]
	v_mul_f64_e32 v[12:13], v[32:33], v[76:77]
	v_fma_f64 v[74:75], v[14:15], v[72:73], -v[80:81]
	s_delay_alu instid0(VALU_DEP_3) | instskip(NEXT) | instid1(VALU_DEP_3)
	v_add_f64_e32 v[144:145], v[44:45], v[26:27]
	v_fma_f64 v[72:73], v[18:19], v[78:79], v[12:13]
	v_mul_f64_e32 v[12:13], v[32:33], v[78:79]
	v_add_f64_e64 v[166:167], v[44:45], -v[26:27]
	s_delay_alu instid0(VALU_DEP_2)
	v_fma_f64 v[32:33], v[18:19], v[76:77], -v[12:13]
	s_clause 0x1
	global_load_b128 v[12:15], v[90:91], off offset:16
	global_load_b128 v[86:89], v[90:91], off
	s_wait_loadcnt 0x1
	v_mul_f64_e32 v[18:19], v[30:31], v[12:13]
	v_mul_f64_e32 v[30:31], v[30:31], v[14:15]
	s_wait_loadcnt 0x0
	v_mul_f64_e32 v[6:7], v[4:5], v[88:89]
	s_delay_alu instid0(VALU_DEP_3) | instskip(NEXT) | instid1(VALU_DEP_3)
	v_fma_f64 v[78:79], v[16:17], v[14:15], v[18:19]
	v_fma_f64 v[76:77], v[16:17], v[12:13], -v[30:31]
	s_clause 0x1
	global_load_b128 v[14:17], v[90:91], off offset:240
	global_load_b128 v[90:93], v[90:91], off offset:224
	v_fma_f64 v[6:7], v[109:110], v[86:87], -v[6:7]
	v_add_co_u32 v30, vcc_lo, s10, v70
	s_wait_alu 0xfffd
	v_add_co_ci_u32_e32 v230, vcc_lo, s11, v71, vcc_lo
	s_mov_b32 s10, 0x3259b75e
	s_mov_b32 s11, 0x3fb79ee6
	s_wait_loadcnt 0x1
	v_mul_f64_e32 v[18:19], v[36:37], v[16:17]
	v_mul_f64_e32 v[12:13], v[36:37], v[14:15]
	s_delay_alu instid0(VALU_DEP_2) | instskip(SKIP_1) | instid1(VALU_DEP_3)
	v_fma_f64 v[36:37], v[24:25], v[14:15], -v[18:19]
	v_mul_f64_e32 v[14:15], v[20:21], v[82:83]
	v_fma_f64 v[12:13], v[24:25], v[16:17], v[12:13]
	s_wait_loadcnt 0x0
	v_mul_f64_e32 v[16:17], v[22:23], v[92:93]
	v_add_f64_e32 v[24:25], v[42:43], v[74:75]
	v_add_f64_e32 v[136:137], v[6:7], v[36:37]
	v_fma_f64 v[80:81], v[8:9], v[84:85], v[14:15]
	v_mul_f64_e32 v[14:15], v[20:21], v[84:85]
	s_delay_alu instid0(VALU_DEP_2) | instskip(NEXT) | instid1(VALU_DEP_2)
	v_add_f64_e64 v[102:103], v[72:73], -v[80:81]
	v_fma_f64 v[8:9], v[8:9], v[82:83], -v[14:15]
	v_mul_f64_e32 v[14:15], v[22:23], v[90:91]
	v_fma_f64 v[82:83], v[10:11], v[90:91], -v[16:17]
	v_add_f64_e64 v[22:23], v[42:43], -v[74:75]
	v_mul_f64_e32 v[114:115], s[42:43], v[102:103]
	s_delay_alu instid0(VALU_DEP_4)
	v_fma_f64 v[84:85], v[10:11], v[92:93], v[14:15]
	v_mul_f64_e32 v[10:11], v[4:5], v[86:87]
	s_wait_dscnt 0x0
	v_dual_mov_b32 v5, v3 :: v_dual_mov_b32 v4, v2
	v_add_f64_e32 v[14:15], v[107:108], v[6:7]
	v_add_f64_e32 v[204:205], v[76:77], v[82:83]
	s_delay_alu instid0(VALU_DEP_3) | instskip(NEXT) | instid1(VALU_DEP_4)
	v_dual_mov_b32 v92, v107 :: v_dual_mov_b32 v61, v5
	v_mov_b32_e32 v60, v4
	v_dual_mov_b32 v20, v22 :: v_dual_mov_b32 v21, v23
	v_add_f64_e64 v[140:141], v[78:79], -v[84:85]
	v_fma_f64 v[10:11], v[109:110], v[88:89], v[10:11]
	v_add_f64_e32 v[110:111], v[34:35], v[66:67]
	v_add_f64_e32 v[14:15], v[76:77], v[14:15]
	s_delay_alu instid0(VALU_DEP_4) | instskip(NEXT) | instid1(VALU_DEP_4)
	v_mul_f64_e32 v[70:71], s[16:17], v[140:141]
	v_add_f64_e32 v[2:3], v[4:5], v[10:11]
	v_add_f64_e32 v[172:173], v[10:11], v[12:13]
	s_delay_alu instid0(VALU_DEP_4) | instskip(NEXT) | instid1(VALU_DEP_4)
	v_add_f64_e32 v[14:15], v[32:33], v[14:15]
	v_fma_f64 v[243:244], v[204:205], s[14:15], -v[70:71]
	s_delay_alu instid0(VALU_DEP_4) | instskip(NEXT) | instid1(VALU_DEP_4)
	v_add_f64_e32 v[2:3], v[78:79], v[2:3]
	v_mul_f64_e32 v[48:49], s[26:27], v[172:173]
	s_delay_alu instid0(VALU_DEP_4) | instskip(NEXT) | instid1(VALU_DEP_3)
	v_add_f64_e32 v[14:15], v[42:43], v[14:15]
	v_add_f64_e32 v[2:3], v[72:73], v[2:3]
	s_delay_alu instid0(VALU_DEP_2) | instskip(NEXT) | instid1(VALU_DEP_2)
	v_add_f64_e32 v[14:15], v[96:97], v[14:15]
	v_add_f64_e32 v[2:3], v[44:45], v[2:3]
	s_delay_alu instid0(VALU_DEP_2) | instskip(NEXT) | instid1(VALU_DEP_2)
	;; [unrolled: 3-line block ×4, first 2 shown]
	v_add_f64_e32 v[14:15], v[46:47], v[14:15]
	v_add_f64_e32 v[2:3], v[94:95], v[2:3]
	v_add_f64_e64 v[94:95], v[6:7], -v[36:37]
	s_delay_alu instid0(VALU_DEP_3) | instskip(NEXT) | instid1(VALU_DEP_3)
	v_add_f64_e32 v[14:15], v[68:69], v[14:15]
	v_add_f64_e32 v[2:3], v[34:35], v[2:3]
	s_delay_alu instid0(VALU_DEP_2) | instskip(NEXT) | instid1(VALU_DEP_2)
	v_add_f64_e32 v[14:15], v[38:39], v[14:15]
	v_add_f64_e32 v[2:3], v[66:67], v[2:3]
	s_delay_alu instid0(VALU_DEP_2) | instskip(NEXT) | instid1(VALU_DEP_2)
	;; [unrolled: 3-line block ×5, first 2 shown]
	v_add_f64_e32 v[14:15], v[8:9], v[14:15]
	v_add_f64_e32 v[2:3], v[26:27], v[2:3]
	;; [unrolled: 1-line block ×3, first 2 shown]
	v_mov_b32_e32 v135, v111
	s_delay_alu instid0(VALU_DEP_4) | instskip(SKIP_2) | instid1(VALU_DEP_3)
	v_add_f64_e32 v[14:15], v[82:83], v[14:15]
	v_mov_b32_e32 v134, v110
	v_add_f64_e32 v[2:3], v[80:81], v[2:3]
	v_add_f64_e32 v[14:15], v[36:37], v[14:15]
	s_delay_alu instid0(VALU_DEP_2) | instskip(NEXT) | instid1(VALU_DEP_1)
	v_add_f64_e32 v[2:3], v[84:85], v[2:3]
	v_add_f64_e32 v[16:17], v[12:13], v[2:3]
	v_mad_co_u64_u32 v[2:3], null, s8, v255, 0
	s_delay_alu instid0(VALU_DEP_1) | instskip(SKIP_1) | instid1(VALU_DEP_2)
	v_mad_co_u64_u32 v[18:19], null, s9, v255, v[3:4]
	v_add_f64_e32 v[4:5], v[46:47], v[68:69]
	v_mov_b32_e32 v3, v18
	v_add_f64_e32 v[18:19], v[64:65], v[38:39]
	s_delay_alu instid0(VALU_DEP_2) | instskip(NEXT) | instid1(VALU_DEP_1)
	v_lshlrev_b64_e32 v[2:3], 4, v[2:3]
	v_add_co_u32 v2, vcc_lo, v30, v2
	s_wait_alu 0xfffd
	s_delay_alu instid0(VALU_DEP_2)
	v_add_co_ci_u32_e32 v3, vcc_lo, v230, v3, vcc_lo
	global_store_b128 v[2:3], v[14:17], off
	v_add_f64_e64 v[16:17], v[10:11], -v[12:13]
	v_add_f64_e64 v[2:3], v[64:65], -v[38:39]
	v_add_f64_e64 v[12:13], v[96:97], -v[0:1]
	v_add_f64_e64 v[38:39], v[32:33], -v[8:9]
	v_add_f64_e64 v[31:32], v[76:77], -v[82:83]
	v_mov_b32_e32 v93, v108
	v_add_f64_e32 v[106:107], v[78:79], v[84:85]
	v_mul_f64_e32 v[0:1], s[2:3], v[172:173]
	v_add_f64_e32 v[108:109], v[72:73], v[80:81]
	v_add_f64_e64 v[14:15], v[50:51], -v[56:57]
	v_add_f64_e32 v[10:11], v[50:51], v[56:57]
	v_add_f64_e64 v[50:51], v[40:41], -v[58:59]
	v_dual_mov_b32 v34, v17 :: v_dual_mov_b32 v33, v16
	scratch_store_b64 off, v[0:1], off offset:80 ; 8-byte Folded Spill
	v_fma_f64 v[6:7], v[94:95], s[4:5], v[0:1]
	v_mul_f64_e32 v[0:1], s[0:1], v[106:107]
	v_mul_f64_e32 v[122:123], s[4:5], v[50:51]
	s_delay_alu instid0(VALU_DEP_3) | instskip(SKIP_3) | instid1(VALU_DEP_2)
	v_add_f64_e32 v[6:7], v[60:61], v[6:7]
	scratch_store_b64 off, v[0:1], off      ; 8-byte Folded Spill
	v_fma_f64 v[8:9], v[31:32], s[18:19], v[0:1]
	v_mul_f64_e32 v[0:1], s[4:5], v[16:17]
	v_add_f64_e32 v[6:7], v[8:9], v[6:7]
	scratch_store_b64 off, v[0:1], off offset:88 ; 8-byte Folded Spill
	v_fma_f64 v[8:9], v[136:137], s[2:3], -v[0:1]
	v_mul_f64_e32 v[0:1], s[18:19], v[140:141]
	s_delay_alu instid0(VALU_DEP_2) | instskip(SKIP_3) | instid1(VALU_DEP_2)
	v_add_f64_e32 v[8:9], v[92:93], v[8:9]
	scratch_store_b64 off, v[0:1], off offset:8 ; 8-byte Folded Spill
	v_fma_f64 v[40:41], v[204:205], s[0:1], -v[0:1]
	v_mul_f64_e32 v[0:1], s[6:7], v[108:109]
	v_add_f64_e32 v[8:9], v[40:41], v[8:9]
	scratch_store_b64 off, v[0:1], off offset:16 ; 8-byte Folded Spill
	v_fma_f64 v[42:43], v[38:39], s[12:13], v[0:1]
	v_mul_f64_e32 v[0:1], s[12:13], v[102:103]
	s_wait_alu 0xfffe
	v_mul_f64_e32 v[40:41], s[10:11], v[108:109]
	s_delay_alu instid0(VALU_DEP_3) | instskip(SKIP_3) | instid1(VALU_DEP_2)
	v_add_f64_e32 v[6:7], v[42:43], v[6:7]
	scratch_store_b64 off, v[0:1], off offset:24 ; 8-byte Folded Spill
	v_fma_f64 v[44:45], v[26:27], s[6:7], -v[0:1]
	v_mul_f64_e32 v[0:1], s[10:11], v[144:145]
	v_add_f64_e32 v[8:9], v[44:45], v[8:9]
	scratch_store_b64 off, v[0:1], off offset:32 ; 8-byte Folded Spill
	v_fma_f64 v[46:47], v[22:23], s[42:43], v[0:1]
	v_mul_f64_e32 v[0:1], s[42:43], v[166:167]
	s_delay_alu instid0(VALU_DEP_2) | instskip(SKIP_3) | instid1(VALU_DEP_2)
	v_add_f64_e32 v[6:7], v[46:47], v[6:7]
	scratch_store_b64 off, v[0:1], off offset:40 ; 8-byte Folded Spill
	v_fma_f64 v[52:53], v[24:25], s[10:11], -v[0:1]
	v_mul_f64_e32 v[0:1], s[14:15], v[112:113]
	v_add_f64_e32 v[8:9], v[52:53], v[8:9]
	scratch_store_b64 off, v[0:1], off offset:48 ; 8-byte Folded Spill
	v_fma_f64 v[54:55], v[12:13], s[24:25], v[0:1]
	v_mul_f64_e32 v[0:1], s[24:25], v[50:51]
	v_dual_mov_b32 v53, v32 :: v_dual_mov_b32 v52, v31
	s_delay_alu instid0(VALU_DEP_3) | instskip(SKIP_3) | instid1(VALU_DEP_2)
	v_add_f64_e32 v[6:7], v[54:55], v[6:7]
	scratch_store_b64 off, v[0:1], off offset:56 ; 8-byte Folded Spill
	v_fma_f64 v[56:57], v[116:117], s[14:15], -v[0:1]
	v_mul_f64_e32 v[0:1], s[20:21], v[126:127]
	v_add_f64_e32 v[8:9], v[56:57], v[8:9]
	scratch_store_b64 off, v[0:1], off offset:64 ; 8-byte Folded Spill
	v_fma_f64 v[58:59], v[14:15], s[38:39], v[0:1]
	v_mul_f64_e32 v[0:1], s[38:39], v[128:129]
	s_delay_alu instid0(VALU_DEP_2) | instskip(SKIP_3) | instid1(VALU_DEP_2)
	v_add_f64_e32 v[6:7], v[58:59], v[6:7]
	scratch_store_b64 off, v[0:1], off offset:72 ; 8-byte Folded Spill
	v_fma_f64 v[64:65], v[10:11], s[20:21], -v[0:1]
	v_mul_f64_e32 v[0:1], s[26:27], v[241:242]
	v_add_f64_e32 v[8:9], v[64:65], v[8:9]
	scratch_store_b64 off, v[0:1], off offset:96 ; 8-byte Folded Spill
	v_fma_f64 v[66:67], v[2:3], s[36:37], v[0:1]
	v_mul_f64_e32 v[0:1], s[36:37], v[28:29]
	v_mul_f64_e32 v[64:65], s[6:7], v[106:107]
	s_delay_alu instid0(VALU_DEP_3) | instskip(SKIP_3) | instid1(VALU_DEP_2)
	v_add_f64_e32 v[6:7], v[66:67], v[6:7]
	scratch_store_b64 off, v[0:1], off offset:104 ; 8-byte Folded Spill
	v_fma_f64 v[68:69], v[18:19], s[26:27], -v[0:1]
	v_mul_f64_e32 v[0:1], s[30:31], v[110:111]
	v_add_f64_e32 v[72:73], v[68:69], v[8:9]
	scratch_store_b64 off, v[0:1], off offset:112 ; 8-byte Folded Spill
	v_fma_f64 v[8:9], v[239:240], s[40:41], v[0:1]
	v_mul_f64_e32 v[0:1], s[40:41], v[118:119]
	s_delay_alu instid0(VALU_DEP_2) | instskip(NEXT) | instid1(VALU_DEP_2)
	v_add_f64_e32 v[8:9], v[8:9], v[6:7]
	v_fma_f64 v[6:7], v[4:5], s[30:31], -v[0:1]
	scratch_store_b64 off, v[0:1], off offset:120 ; 8-byte Folded Spill
	v_or_b32_e32 v0, 16, v255
	v_add_f64_e32 v[6:7], v[6:7], v[72:73]
	s_delay_alu instid0(VALU_DEP_2) | instskip(NEXT) | instid1(VALU_DEP_1)
	v_mad_co_u64_u32 v[72:73], null, s8, v0, 0
	v_mad_co_u64_u32 v[73:74], null, s9, v0, v[73:74]
	v_mul_f64_e32 v[0:1], s[0:1], v[172:173]
	s_delay_alu instid0(VALU_DEP_2) | instskip(NEXT) | instid1(VALU_DEP_1)
	v_lshlrev_b64_e32 v[72:73], 4, v[72:73]
	v_add_co_u32 v72, vcc_lo, v30, v72
	s_wait_alu 0xfffd
	s_delay_alu instid0(VALU_DEP_2)
	v_add_co_ci_u32_e32 v73, vcc_lo, v230, v73, vcc_lo
	global_store_b128 v[72:73], v[6:9], off
	v_dual_mov_b32 v73, v25 :: v_dual_mov_b32 v72, v24
	scratch_store_b64 off, v[0:1], off offset:160 ; 8-byte Folded Spill
	v_fma_f64 v[6:7], v[94:95], s[18:19], v[0:1]
	v_mul_f64_e32 v[0:1], s[10:11], v[106:107]
	s_delay_alu instid0(VALU_DEP_2) | instskip(SKIP_3) | instid1(VALU_DEP_2)
	v_add_f64_e32 v[6:7], v[60:61], v[6:7]
	scratch_store_b64 off, v[0:1], off offset:128 ; 8-byte Folded Spill
	v_fma_f64 v[8:9], v[31:32], s[42:43], v[0:1]
	v_mul_f64_e32 v[0:1], s[18:19], v[16:17]
	v_add_f64_e32 v[6:7], v[8:9], v[6:7]
	scratch_store_b64 off, v[0:1], off offset:152 ; 8-byte Folded Spill
	v_fma_f64 v[8:9], v[136:137], s[0:1], -v[0:1]
	v_mul_f64_e32 v[0:1], s[42:43], v[140:141]
	s_delay_alu instid0(VALU_DEP_2) | instskip(SKIP_3) | instid1(VALU_DEP_2)
	v_add_f64_e32 v[8:9], v[92:93], v[8:9]
	scratch_store_b64 off, v[0:1], off offset:136 ; 8-byte Folded Spill
	v_fma_f64 v[76:77], v[204:205], s[10:11], -v[0:1]
	v_mul_f64_e32 v[0:1], s[20:21], v[108:109]
	v_add_f64_e32 v[8:9], v[76:77], v[8:9]
	scratch_store_b64 off, v[0:1], off offset:144 ; 8-byte Folded Spill
	v_fma_f64 v[78:79], v[38:39], s[38:39], v[0:1]
	v_mul_f64_e32 v[0:1], s[38:39], v[102:103]
	v_dual_mov_b32 v77, v27 :: v_dual_mov_b32 v76, v26
	s_delay_alu instid0(VALU_DEP_3) | instskip(SKIP_4) | instid1(VALU_DEP_3)
	v_add_f64_e32 v[6:7], v[78:79], v[6:7]
	scratch_store_b64 off, v[0:1], off offset:168 ; 8-byte Folded Spill
	v_fma_f64 v[80:81], v[26:27], s[20:21], -v[0:1]
	v_mul_f64_e32 v[0:1], s[30:31], v[144:145]
	v_mul_f64_e32 v[78:79], s[14:15], v[106:107]
	v_add_f64_e32 v[8:9], v[80:81], v[8:9]
	scratch_store_b64 off, v[0:1], off offset:176 ; 8-byte Folded Spill
	v_fma_f64 v[82:83], v[22:23], s[40:41], v[0:1]
	v_mul_f64_e32 v[0:1], s[40:41], v[166:167]
	v_mul_f64_e32 v[80:81], s[28:29], v[140:141]
	s_delay_alu instid0(VALU_DEP_3)
	v_add_f64_e32 v[6:7], v[82:83], v[6:7]
	scratch_store_b64 off, v[0:1], off offset:184 ; 8-byte Folded Spill
	v_fma_f64 v[84:85], v[24:25], s[30:31], -v[0:1]
	v_mul_f64_e32 v[0:1], s[26:27], v[112:113]
	v_mul_f64_e32 v[82:83], s[40:41], v[140:141]
	v_fma_f64 v[208:209], v[204:205], s[26:27], -v[80:81]
	s_delay_alu instid0(VALU_DEP_4)
	v_add_f64_e32 v[8:9], v[84:85], v[8:9]
	scratch_store_b64 off, v[0:1], off offset:192 ; 8-byte Folded Spill
	v_fma_f64 v[86:87], v[12:13], s[28:29], v[0:1]
	v_mul_f64_e32 v[0:1], s[28:29], v[50:51]
	v_mul_f64_e32 v[84:85], s[30:31], v[106:107]
	v_fma_f64 v[176:177], v[204:205], s[30:31], -v[82:83]
	s_delay_alu instid0(VALU_DEP_4) | instskip(SKIP_4) | instid1(VALU_DEP_3)
	v_add_f64_e32 v[6:7], v[86:87], v[6:7]
	scratch_store_b64 off, v[0:1], off offset:200 ; 8-byte Folded Spill
	v_fma_f64 v[88:89], v[116:117], s[26:27], -v[0:1]
	v_mul_f64_e32 v[0:1], s[14:15], v[126:127]
	v_mul_f64_e32 v[86:87], s[10:11], v[172:173]
	v_add_f64_e32 v[8:9], v[88:89], v[8:9]
	scratch_store_b64 off, v[0:1], off offset:208 ; 8-byte Folded Spill
	v_fma_f64 v[90:91], v[14:15], s[16:17], v[0:1]
	v_mul_f64_e32 v[0:1], s[16:17], v[128:129]
	v_mul_f64_e32 v[88:89], s[36:37], v[118:119]
	s_delay_alu instid0(VALU_DEP_3)
	v_add_f64_e32 v[6:7], v[90:91], v[6:7]
	scratch_store_b64 off, v[0:1], off offset:216 ; 8-byte Folded Spill
	v_fma_f64 v[96:97], v[10:11], s[14:15], -v[0:1]
	v_mul_f64_e32 v[0:1], s[6:7], v[241:242]
	v_mul_f64_e32 v[90:91], s[12:13], v[16:17]
	v_dual_mov_b32 v16, v60 :: v_dual_mov_b32 v17, v61
	s_delay_alu instid0(VALU_DEP_4) | instskip(SKIP_4) | instid1(VALU_DEP_3)
	v_add_f64_e32 v[8:9], v[96:97], v[8:9]
	scratch_store_b64 off, v[0:1], off offset:224 ; 8-byte Folded Spill
	v_fma_f64 v[98:99], v[2:3], s[44:45], v[0:1]
	v_mul_f64_e32 v[0:1], s[44:45], v[28:29]
	v_mul_f64_e32 v[96:97], s[38:39], v[140:141]
	v_add_f64_e32 v[6:7], v[98:99], v[6:7]
	s_delay_alu instid0(VALU_DEP_3)
	v_fma_f64 v[100:101], v[18:19], s[6:7], -v[0:1]
	v_mul_f64_e32 v[98:99], s[46:47], v[118:119]
	scratch_store_b64 off, v[0:1], off offset:232 ; 8-byte Folded Spill
	v_or_b32_e32 v0, 32, v255
	v_fma_f64 v[142:143], v[204:205], s[20:21], -v[96:97]
	v_add_f64_e32 v[104:105], v[100:101], v[8:9]
	v_mul_f64_e32 v[100:101], s[2:3], v[110:111]
	s_delay_alu instid0(VALU_DEP_1) | instskip(NEXT) | instid1(VALU_DEP_1)
	v_fma_f64 v[8:9], v[239:240], s[46:47], v[100:101]
	v_add_f64_e32 v[8:9], v[8:9], v[6:7]
	v_fma_f64 v[6:7], v[4:5], s[2:3], -v[98:99]
	s_delay_alu instid0(VALU_DEP_1) | instskip(SKIP_1) | instid1(VALU_DEP_1)
	v_add_f64_e32 v[6:7], v[6:7], v[104:105]
	v_mad_co_u64_u32 v[104:105], null, s8, v0, 0
	v_mad_co_u64_u32 v[138:139], null, s9, v0, v[105:106]
	v_or_b32_e32 v0, 48, v255
	s_delay_alu instid0(VALU_DEP_2) | instskip(SKIP_1) | instid1(VALU_DEP_2)
	v_mov_b32_e32 v105, v138
	v_mul_f64_e32 v[138:139], s[20:21], v[106:107]
	v_lshlrev_b64_e32 v[104:105], 4, v[104:105]
	s_delay_alu instid0(VALU_DEP_1) | instskip(SKIP_1) | instid1(VALU_DEP_2)
	v_add_co_u32 v104, vcc_lo, v30, v104
	s_wait_alu 0xfffd
	v_add_co_ci_u32_e32 v105, vcc_lo, v230, v105, vcc_lo
	global_store_b128 v[104:105], v[6:9], off
	v_mul_f64_e32 v[104:105], s[6:7], v[172:173]
	v_fma_f64 v[8:9], v[31:32], s[38:39], v[138:139]
	v_dual_mov_b32 v32, v29 :: v_dual_mov_b32 v31, v28
	v_mul_f64_e32 v[74:75], s[38:39], v[33:34]
	v_mul_f64_e32 v[43:44], s[36:37], v[33:34]
	s_delay_alu instid0(VALU_DEP_3) | instskip(SKIP_2) | instid1(VALU_DEP_1)
	v_mul_f64_e32 v[58:59], s[40:41], v[31:32]
	v_mul_f64_e32 v[130:131], s[48:49], v[31:32]
	v_fma_f64 v[6:7], v[94:95], s[12:13], v[104:105]
	v_add_f64_e32 v[6:7], v[60:61], v[6:7]
	s_delay_alu instid0(VALU_DEP_1) | instskip(SKIP_1) | instid1(VALU_DEP_1)
	v_add_f64_e32 v[6:7], v[8:9], v[6:7]
	v_fma_f64 v[8:9], v[136:137], s[6:7], -v[90:91]
	v_add_f64_e32 v[8:9], v[92:93], v[8:9]
	s_delay_alu instid0(VALU_DEP_1) | instskip(SKIP_1) | instid1(VALU_DEP_1)
	v_add_f64_e32 v[8:9], v[142:143], v[8:9]
	v_mul_f64_e32 v[142:143], s[30:31], v[108:109]
	v_fma_f64 v[146:147], v[38:39], s[34:35], v[142:143]
	s_delay_alu instid0(VALU_DEP_1) | instskip(SKIP_1) | instid1(VALU_DEP_1)
	v_add_f64_e32 v[6:7], v[146:147], v[6:7]
	v_mul_f64_e32 v[146:147], s[34:35], v[102:103]
	v_fma_f64 v[148:149], v[26:27], s[30:31], -v[146:147]
	s_delay_alu instid0(VALU_DEP_1) | instskip(SKIP_1) | instid1(VALU_DEP_1)
	v_add_f64_e32 v[8:9], v[148:149], v[8:9]
	v_mul_f64_e32 v[148:149], s[14:15], v[144:145]
	v_fma_f64 v[150:151], v[22:23], s[16:17], v[148:149]
	s_delay_alu instid0(VALU_DEP_1) | instskip(SKIP_1) | instid1(VALU_DEP_1)
	v_add_f64_e32 v[6:7], v[150:151], v[6:7]
	v_mul_f64_e32 v[150:151], s[16:17], v[166:167]
	v_fma_f64 v[152:153], v[24:25], s[14:15], -v[150:151]
	;; [unrolled: 8-line block ×5, first 2 shown]
	s_delay_alu instid0(VALU_DEP_1) | instskip(SKIP_1) | instid1(VALU_DEP_1)
	v_add_f64_e32 v[168:169], v[164:165], v[8:9]
	v_mul_f64_e32 v[164:165], s[26:27], v[110:111]
	v_fma_f64 v[8:9], v[239:240], s[36:37], v[164:165]
	s_delay_alu instid0(VALU_DEP_1) | instskip(SKIP_1) | instid1(VALU_DEP_1)
	v_add_f64_e32 v[8:9], v[8:9], v[6:7]
	v_fma_f64 v[6:7], v[4:5], s[26:27], -v[88:89]
	v_add_f64_e32 v[6:7], v[6:7], v[168:169]
	v_mad_co_u64_u32 v[168:169], null, s8, v0, 0
	s_delay_alu instid0(VALU_DEP_1) | instskip(SKIP_2) | instid1(VALU_DEP_3)
	v_mad_co_u64_u32 v[169:170], null, s9, v0, v[169:170]
	v_fma_f64 v[170:171], v[52:53], s[40:41], v[84:85]
	v_or_b32_e32 v0, 64, v255
	v_lshlrev_b64_e32 v[168:169], 4, v[168:169]
	s_delay_alu instid0(VALU_DEP_1) | instskip(SKIP_1) | instid1(VALU_DEP_2)
	v_add_co_u32 v168, vcc_lo, v30, v168
	s_wait_alu 0xfffd
	v_add_co_ci_u32_e32 v169, vcc_lo, v230, v169, vcc_lo
	global_store_b128 v[168:169], v[6:9], off
	v_fma_f64 v[8:9], v[94:95], s[42:43], v[86:87]
	v_dual_mov_b32 v6, v10 :: v_dual_mov_b32 v7, v11
	s_delay_alu instid0(VALU_DEP_2) | instskip(SKIP_1) | instid1(VALU_DEP_2)
	v_add_f64_e32 v[168:169], v[60:61], v[8:9]
	v_dual_mov_b32 v8, v14 :: v_dual_mov_b32 v9, v15
	v_add_f64_e32 v[174:175], v[170:171], v[168:169]
	v_mul_f64_e32 v[168:169], s[42:43], v[33:34]
	s_delay_alu instid0(VALU_DEP_1) | instskip(NEXT) | instid1(VALU_DEP_1)
	v_fma_f64 v[170:171], v[136:137], s[10:11], -v[168:169]
	v_add_f64_e32 v[170:171], v[92:93], v[170:171]
	s_delay_alu instid0(VALU_DEP_1) | instskip(SKIP_1) | instid1(VALU_DEP_1)
	v_add_f64_e32 v[176:177], v[176:177], v[170:171]
	v_mul_f64_e32 v[170:171], s[14:15], v[108:109]
	v_fma_f64 v[178:179], v[38:39], s[16:17], v[170:171]
	s_delay_alu instid0(VALU_DEP_1) | instskip(SKIP_1) | instid1(VALU_DEP_1)
	v_add_f64_e32 v[178:179], v[178:179], v[174:175]
	v_mul_f64_e32 v[174:175], s[16:17], v[102:103]
	v_fma_f64 v[180:181], v[26:27], s[14:15], -v[174:175]
	s_delay_alu instid0(VALU_DEP_1) | instskip(SKIP_1) | instid1(VALU_DEP_1)
	v_add_f64_e32 v[180:181], v[180:181], v[176:177]
	v_mul_f64_e32 v[176:177], s[2:3], v[144:145]
	v_fma_f64 v[182:183], v[22:23], s[46:47], v[176:177]
	s_delay_alu instid0(VALU_DEP_1) | instskip(SKIP_1) | instid1(VALU_DEP_1)
	v_add_f64_e32 v[182:183], v[182:183], v[178:179]
	v_mul_f64_e32 v[178:179], s[46:47], v[166:167]
	v_fma_f64 v[184:185], v[24:25], s[2:3], -v[178:179]
	;; [unrolled: 8-line block ×4, first 2 shown]
	s_delay_alu instid0(VALU_DEP_1) | instskip(SKIP_1) | instid1(VALU_DEP_1)
	v_add_f64_e32 v[192:193], v[192:193], v[188:189]
	v_mul_f64_e32 v[188:189], s[20:21], v[241:242]
	v_fma_f64 v[194:195], v[2:3], s[22:23], v[188:189]
	s_delay_alu instid0(VALU_DEP_1) | instskip(SKIP_2) | instid1(VALU_DEP_2)
	v_add_f64_e32 v[194:195], v[194:195], v[190:191]
	v_mul_f64_e32 v[190:191], s[22:23], v[28:29]
	v_dual_mov_b32 v28, v116 :: v_dual_mov_b32 v29, v117
	v_fma_f64 v[196:197], v[18:19], s[20:21], -v[190:191]
	s_delay_alu instid0(VALU_DEP_1) | instskip(SKIP_1) | instid1(VALU_DEP_1)
	v_add_f64_e32 v[196:197], v[196:197], v[192:193]
	v_mul_f64_e32 v[192:193], s[0:1], v[110:111]
	v_fma_f64 v[198:199], v[239:240], s[48:49], v[192:193]
	s_delay_alu instid0(VALU_DEP_1) | instskip(SKIP_1) | instid1(VALU_DEP_1)
	v_add_f64_e32 v[198:199], v[198:199], v[194:195]
	v_mul_f64_e32 v[194:195], s[48:49], v[118:119]
	v_fma_f64 v[200:201], v[4:5], s[0:1], -v[194:195]
	s_delay_alu instid0(VALU_DEP_1) | instskip(SKIP_1) | instid1(VALU_DEP_1)
	v_add_f64_e32 v[196:197], v[200:201], v[196:197]
	v_mad_co_u64_u32 v[200:201], null, s8, v0, 0
	v_mad_co_u64_u32 v[201:202], null, s9, v0, v[201:202]
	v_or_b32_e32 v0, 0x50, v255
	s_delay_alu instid0(VALU_DEP_2) | instskip(NEXT) | instid1(VALU_DEP_1)
	v_lshlrev_b64_e32 v[200:201], 4, v[200:201]
	v_add_co_u32 v200, vcc_lo, v30, v200
	s_wait_alu 0xfffd
	s_delay_alu instid0(VALU_DEP_2) | instskip(SKIP_2) | instid1(VALU_DEP_1)
	v_add_co_ci_u32_e32 v201, vcc_lo, v230, v201, vcc_lo
	global_store_b128 v[200:201], v[196:199], off
	v_mul_f64_e32 v[196:197], s[14:15], v[172:173]
	v_fma_f64 v[198:199], v[94:95], s[24:25], v[196:197]
	s_delay_alu instid0(VALU_DEP_1) | instskip(SKIP_2) | instid1(VALU_DEP_2)
	v_add_f64_e32 v[200:201], v[60:61], v[198:199]
	v_mul_f64_e32 v[198:199], s[26:27], v[106:107]
	v_mul_f64_e32 v[60:61], s[30:31], v[241:242]
	v_fma_f64 v[202:203], v[52:53], s[28:29], v[198:199]
	s_delay_alu instid0(VALU_DEP_1) | instskip(SKIP_1) | instid1(VALU_DEP_1)
	v_add_f64_e32 v[206:207], v[202:203], v[200:201]
	v_mul_f64_e32 v[200:201], s[24:25], v[33:34]
	v_fma_f64 v[202:203], v[136:137], s[14:15], -v[200:201]
	s_delay_alu instid0(VALU_DEP_1) | instskip(NEXT) | instid1(VALU_DEP_1)
	v_add_f64_e32 v[202:203], v[92:93], v[202:203]
	v_add_f64_e32 v[208:209], v[208:209], v[202:203]
	v_mul_f64_e32 v[202:203], s[0:1], v[108:109]
	s_delay_alu instid0(VALU_DEP_1) | instskip(NEXT) | instid1(VALU_DEP_1)
	v_fma_f64 v[210:211], v[38:39], s[48:49], v[202:203]
	v_add_f64_e32 v[210:211], v[210:211], v[206:207]
	v_mul_f64_e32 v[206:207], s[48:49], v[102:103]
	s_delay_alu instid0(VALU_DEP_1) | instskip(NEXT) | instid1(VALU_DEP_1)
	v_fma_f64 v[212:213], v[26:27], s[0:1], -v[206:207]
	v_add_f64_e32 v[212:213], v[212:213], v[208:209]
	v_mul_f64_e32 v[208:209], s[6:7], v[144:145]
	s_delay_alu instid0(VALU_DEP_1) | instskip(SKIP_1) | instid1(VALU_DEP_2)
	v_fma_f64 v[214:215], v[22:23], s[12:13], v[208:209]
	v_or_b32_e32 v22, 0x70, v255
	v_add_f64_e32 v[214:215], v[214:215], v[210:211]
	v_mul_f64_e32 v[210:211], s[12:13], v[166:167]
	s_delay_alu instid0(VALU_DEP_1) | instskip(SKIP_1) | instid1(VALU_DEP_2)
	v_fma_f64 v[216:217], v[24:25], s[6:7], -v[210:211]
	v_dual_mov_b32 v25, v19 :: v_dual_mov_b32 v24, v18
	v_add_f64_e32 v[216:217], v[216:217], v[212:213]
	v_mul_f64_e32 v[212:213], s[30:31], v[112:113]
	s_delay_alu instid0(VALU_DEP_1) | instskip(NEXT) | instid1(VALU_DEP_1)
	v_fma_f64 v[218:219], v[12:13], s[40:41], v[212:213]
	v_add_f64_e32 v[218:219], v[218:219], v[214:215]
	v_mul_f64_e32 v[214:215], s[40:41], v[50:51]
	s_delay_alu instid0(VALU_DEP_1) | instskip(SKIP_1) | instid1(VALU_DEP_2)
	v_fma_f64 v[220:221], v[116:117], s[30:31], -v[214:215]
	v_mul_f64_e32 v[116:117], s[20:21], v[144:145]
	v_add_f64_e32 v[220:221], v[220:221], v[216:217]
	v_mul_f64_e32 v[216:217], s[10:11], v[126:127]
	s_delay_alu instid0(VALU_DEP_1) | instskip(SKIP_1) | instid1(VALU_DEP_2)
	v_fma_f64 v[222:223], v[14:15], s[50:51], v[216:217]
	v_dual_mov_b32 v14, v72 :: v_dual_mov_b32 v15, v73
	v_add_f64_e32 v[222:223], v[222:223], v[218:219]
	v_mul_f64_e32 v[218:219], s[50:51], v[128:129]
	s_delay_alu instid0(VALU_DEP_1) | instskip(SKIP_1) | instid1(VALU_DEP_2)
	v_fma_f64 v[224:225], v[10:11], s[10:11], -v[218:219]
	v_mov_b32_e32 v10, v28
	v_add_f64_e32 v[224:225], v[224:225], v[220:221]
	v_mul_f64_e32 v[220:221], s[2:3], v[241:242]
	s_delay_alu instid0(VALU_DEP_1) | instskip(NEXT) | instid1(VALU_DEP_1)
	v_fma_f64 v[226:227], v[2:3], s[4:5], v[220:221]
	v_add_f64_e32 v[226:227], v[226:227], v[222:223]
	v_mul_f64_e32 v[222:223], s[4:5], v[31:32]
	s_delay_alu instid0(VALU_DEP_1) | instskip(SKIP_3) | instid1(VALU_DEP_4)
	v_fma_f64 v[231:232], v[18:19], s[2:3], -v[222:223]
	v_mov_b32_e32 v18, v26
	v_mul_f64_e32 v[56:57], s[6:7], v[134:135]
	v_mul_f64_e32 v[132:133], s[14:15], v[134:135]
	v_add_f64_e32 v[231:232], v[231:232], v[224:225]
	v_mul_f64_e32 v[224:225], s[20:21], v[110:111]
	v_mul_f64_e32 v[110:111], s[44:45], v[140:141]
	v_mul_f64_e32 v[140:141], s[46:47], v[140:141]
	s_delay_alu instid0(VALU_DEP_3) | instskip(NEXT) | instid1(VALU_DEP_1)
	v_fma_f64 v[233:234], v[239:240], s[38:39], v[224:225]
	v_add_f64_e32 v[233:234], v[233:234], v[226:227]
	v_mul_f64_e32 v[226:227], s[38:39], v[118:119]
	s_delay_alu instid0(VALU_DEP_1) | instskip(NEXT) | instid1(VALU_DEP_1)
	v_fma_f64 v[235:236], v[4:5], s[20:21], -v[226:227]
	v_add_f64_e32 v[231:232], v[235:236], v[231:232]
	v_mad_co_u64_u32 v[235:236], null, s8, v0, 0
	s_delay_alu instid0(VALU_DEP_1)
	v_mad_co_u64_u32 v[236:237], null, s9, v0, v[236:237]
	v_dual_mov_b32 v238, v119 :: v_dual_mov_b32 v237, v118
	v_or_b32_e32 v0, 0x60, v255
	v_mul_f64_e32 v[118:119], s[22:23], v[166:167]
	v_dual_mov_b32 v19, v27 :: v_dual_mov_b32 v26, v134
	v_lshlrev_b64_e32 v[235:236], 4, v[235:236]
	v_mul_f64_e32 v[54:55], s[44:45], v[237:238]
	v_mov_b32_e32 v11, v29
	s_delay_alu instid0(VALU_DEP_3) | instskip(SKIP_1) | instid1(VALU_DEP_4)
	v_add_co_u32 v235, vcc_lo, v30, v235
	s_wait_alu 0xfffd
	v_add_co_ci_u32_e32 v236, vcc_lo, v230, v236, vcc_lo
	global_store_b128 v[235:236], v[231:234], off
	v_mul_f64_e32 v[235:236], s[20:21], v[172:173]
	v_fma_f64 v[233:234], v[52:53], s[16:17], v[78:79]
	s_delay_alu instid0(VALU_DEP_2) | instskip(NEXT) | instid1(VALU_DEP_1)
	v_fma_f64 v[231:232], v[94:95], s[38:39], v[235:236]
	v_add_f64_e32 v[231:232], v[16:17], v[231:232]
	s_delay_alu instid0(VALU_DEP_1) | instskip(SKIP_1) | instid1(VALU_DEP_1)
	v_add_f64_e32 v[231:232], v[233:234], v[231:232]
	v_fma_f64 v[233:234], v[136:137], s[20:21], -v[74:75]
	v_add_f64_e32 v[233:234], v[92:93], v[233:234]
	s_delay_alu instid0(VALU_DEP_1) | instskip(SKIP_1) | instid1(VALU_DEP_1)
	v_add_f64_e32 v[233:234], v[243:244], v[233:234]
	v_mul_f64_e32 v[243:244], s[2:3], v[108:109]
	v_fma_f64 v[245:246], v[38:39], s[4:5], v[243:244]
	s_delay_alu instid0(VALU_DEP_1) | instskip(SKIP_2) | instid1(VALU_DEP_2)
	v_add_f64_e32 v[231:232], v[245:246], v[231:232]
	v_mul_f64_e32 v[245:246], s[4:5], v[102:103]
	v_mul_f64_e32 v[102:103], s[36:37], v[102:103]
	v_fma_f64 v[247:248], v[76:77], s[2:3], -v[245:246]
	s_delay_alu instid0(VALU_DEP_1) | instskip(SKIP_2) | instid1(VALU_DEP_2)
	v_add_f64_e32 v[233:234], v[247:248], v[233:234]
	v_mul_f64_e32 v[247:248], s[26:27], v[144:145]
	v_mul_f64_e32 v[144:145], s[0:1], v[144:145]
	v_fma_f64 v[249:250], v[20:21], s[36:37], v[247:248]
	s_delay_alu instid0(VALU_DEP_1) | instskip(SKIP_2) | instid1(VALU_DEP_2)
	v_add_f64_e32 v[231:232], v[249:250], v[231:232]
	v_mul_f64_e32 v[249:250], s[36:37], v[166:167]
	v_mul_f64_e32 v[166:167], s[48:49], v[166:167]
	v_fma_f64 v[251:252], v[72:73], s[26:27], -v[249:250]
	s_delay_alu instid0(VALU_DEP_1) | instskip(SKIP_1) | instid1(VALU_DEP_1)
	v_add_f64_e32 v[233:234], v[251:252], v[233:234]
	v_mul_f64_e32 v[251:252], s[10:11], v[112:113]
	v_fma_f64 v[253:254], v[12:13], s[50:51], v[251:252]
	s_delay_alu instid0(VALU_DEP_1) | instskip(SKIP_1) | instid1(VALU_DEP_1)
	v_add_f64_e32 v[231:232], v[253:254], v[231:232]
	v_mul_f64_e32 v[253:254], s[50:51], v[50:51]
	v_fma_f64 v[36:37], v[28:29], s[10:11], -v[253:254]
	s_delay_alu instid0(VALU_DEP_1) | instskip(SKIP_1) | instid1(VALU_DEP_1)
	v_add_f64_e32 v[36:37], v[36:37], v[233:234]
	v_fma_f64 v[233:234], v[8:9], s[18:19], v[62:63]
	v_add_f64_e32 v[231:232], v[233:234], v[231:232]
	v_fma_f64 v[233:234], v[6:7], s[0:1], -v[228:229]
	s_delay_alu instid0(VALU_DEP_1) | instskip(SKIP_1) | instid1(VALU_DEP_1)
	v_add_f64_e32 v[36:37], v[233:234], v[36:37]
	v_fma_f64 v[233:234], v[2:3], s[40:41], v[60:61]
	v_add_f64_e32 v[231:232], v[233:234], v[231:232]
	;; [unrolled: 5-line block ×3, first 2 shown]
	v_fma_f64 v[231:232], v[4:5], s[6:7], -v[54:55]
	s_delay_alu instid0(VALU_DEP_1) | instskip(SKIP_1) | instid1(VALU_DEP_1)
	v_add_f64_e32 v[231:232], v[231:232], v[36:37]
	v_mad_co_u64_u32 v[36:37], null, s8, v0, 0
	v_mov_b32_e32 v23, v37
	s_delay_alu instid0(VALU_DEP_1) | instskip(SKIP_1) | instid1(VALU_DEP_2)
	v_mad_co_u64_u32 v[46:47], null, s9, v0, v[23:24]
	v_dual_mov_b32 v0, v24 :: v_dual_mov_b32 v1, v25
	v_mov_b32_e32 v37, v46
	v_fma_f64 v[46:47], v[94:95], s[36:37], v[48:49]
	s_delay_alu instid0(VALU_DEP_2) | instskip(NEXT) | instid1(VALU_DEP_1)
	v_lshlrev_b64_e32 v[36:37], 4, v[36:37]
	v_add_co_u32 v36, vcc_lo, v30, v36
	s_wait_alu 0xfffd
	s_delay_alu instid0(VALU_DEP_2)
	v_add_co_ci_u32_e32 v37, vcc_lo, v230, v37, vcc_lo
	global_store_b128 v[36:37], v[231:234], off
	v_fma_f64 v[231:232], v[52:53], s[44:45], v[64:65]
	v_fma_f64 v[233:234], v[204:205], s[6:7], -v[110:111]
	v_mul_f64_e32 v[35:36], s[40:41], v[128:129]
	v_add_f64_e32 v[46:47], v[16:17], v[46:47]
	s_delay_alu instid0(VALU_DEP_1) | instskip(SKIP_1) | instid1(VALU_DEP_1)
	v_add_f64_e32 v[46:47], v[231:232], v[46:47]
	v_fma_f64 v[231:232], v[136:137], s[26:27], -v[43:44]
	v_add_f64_e32 v[231:232], v[92:93], v[231:232]
	s_delay_alu instid0(VALU_DEP_1) | instskip(SKIP_1) | instid1(VALU_DEP_1)
	v_add_f64_e32 v[231:232], v[233:234], v[231:232]
	v_fma_f64 v[233:234], v[38:39], s[42:43], v[40:41]
	v_add_f64_e32 v[46:47], v[233:234], v[46:47]
	v_fma_f64 v[233:234], v[76:77], s[10:11], -v[114:115]
	v_dual_mov_b32 v76, v128 :: v_dual_mov_b32 v77, v129
	v_mul_f64_e32 v[128:129], s[0:1], v[241:242]
	v_mul_f64_e32 v[241:242], s[14:15], v[241:242]
	s_delay_alu instid0(VALU_DEP_4) | instskip(SKIP_1) | instid1(VALU_DEP_1)
	v_add_f64_e32 v[231:232], v[233:234], v[231:232]
	v_fma_f64 v[233:234], v[20:21], s[22:23], v[116:117]
	v_add_f64_e32 v[46:47], v[233:234], v[46:47]
	v_fma_f64 v[233:234], v[72:73], s[20:21], -v[118:119]
	s_delay_alu instid0(VALU_DEP_1) | instskip(SKIP_1) | instid1(VALU_DEP_1)
	v_add_f64_e32 v[231:232], v[233:234], v[231:232]
	v_fma_f64 v[233:234], v[12:13], s[4:5], v[120:121]
	v_add_f64_e32 v[46:47], v[233:234], v[46:47]
	v_fma_f64 v[233:234], v[28:29], s[2:3], -v[122:123]
	v_dual_mov_b32 v28, v237 :: v_dual_mov_b32 v29, v238
	s_delay_alu instid0(VALU_DEP_1) | instskip(NEXT) | instid1(VALU_DEP_3)
	v_mul_f64_e32 v[28:29], s[50:51], v[28:29]
	v_add_f64_e32 v[231:232], v[233:234], v[231:232]
	v_fma_f64 v[233:234], v[8:9], s[40:41], v[124:125]
	s_delay_alu instid0(VALU_DEP_1) | instskip(SKIP_1) | instid1(VALU_DEP_1)
	v_add_f64_e32 v[46:47], v[233:234], v[46:47]
	v_fma_f64 v[233:234], v[6:7], s[30:31], -v[35:36]
	v_add_f64_e32 v[231:232], v[233:234], v[231:232]
	v_fma_f64 v[233:234], v[2:3], s[48:49], v[128:129]
	s_delay_alu instid0(VALU_DEP_1) | instskip(SKIP_1) | instid1(VALU_DEP_1)
	v_add_f64_e32 v[46:47], v[233:234], v[46:47]
	v_fma_f64 v[233:234], v[24:25], s[0:1], -v[130:131]
	v_add_f64_e32 v[231:232], v[233:234], v[231:232]
	v_fma_f64 v[233:234], v[239:240], s[24:25], v[132:133]
	s_delay_alu instid0(VALU_DEP_1) | instskip(SKIP_3) | instid1(VALU_DEP_3)
	v_add_f64_e32 v[233:234], v[233:234], v[46:47]
	v_mul_f64_e32 v[46:47], s[24:25], v[237:238]
	v_mul_f64_e32 v[237:238], s[44:45], v[76:77]
	v_or_b32_e32 v76, 0x80, v255
	v_fma_f64 v[68:69], v[4:5], s[14:15], -v[46:47]
	s_delay_alu instid0(VALU_DEP_1) | instskip(SKIP_1) | instid1(VALU_DEP_1)
	v_add_f64_e32 v[231:232], v[68:69], v[231:232]
	v_mad_co_u64_u32 v[68:69], null, s8, v22, 0
	v_mov_b32_e32 v23, v69
	s_delay_alu instid0(VALU_DEP_1) | instskip(SKIP_2) | instid1(VALU_DEP_3)
	v_mad_co_u64_u32 v[66:67], null, s9, v22, v[23:24]
	v_mul_f64_e32 v[22:23], s[6:7], v[126:127]
	v_mul_f64_e32 v[24:25], s[24:25], v[31:32]
	v_mov_b32_e32 v69, v66
	s_delay_alu instid0(VALU_DEP_1) | instskip(SKIP_1) | instid1(VALU_DEP_2)
	v_lshlrev_b64_e32 v[66:67], 4, v[68:69]
	v_mul_f64_e32 v[68:69], s[2:3], v[106:107]
	v_add_co_u32 v66, vcc_lo, v30, v66
	s_wait_alu 0xfffd
	s_delay_alu instid0(VALU_DEP_3)
	v_add_co_ci_u32_e32 v67, vcc_lo, v230, v67, vcc_lo
	global_store_b128 v[66:67], v[231:234], off
	v_mul_f64_e32 v[66:67], s[30:31], v[172:173]
	v_fma_f64 v[233:234], v[204:205], s[2:3], -v[140:141]
	v_fma_f64 v[172:173], v[52:53], s[46:47], v[68:69]
	v_fma_f64 v[68:69], v[52:53], s[4:5], v[68:69]
	s_delay_alu instid0(VALU_DEP_4) | instskip(SKIP_1) | instid1(VALU_DEP_2)
	v_fma_f64 v[106:107], v[94:95], s[40:41], v[66:67]
	v_fma_f64 v[66:67], v[94:95], s[34:35], v[66:67]
	v_add_f64_e32 v[106:107], v[16:17], v[106:107]
	s_delay_alu instid0(VALU_DEP_2) | instskip(NEXT) | instid1(VALU_DEP_2)
	v_add_f64_e32 v[66:67], v[16:17], v[66:67]
	v_add_f64_e32 v[106:107], v[172:173], v[106:107]
	v_mul_f64_e32 v[172:173], s[40:41], v[33:34]
	s_delay_alu instid0(VALU_DEP_3) | instskip(NEXT) | instid1(VALU_DEP_2)
	v_add_f64_e32 v[66:67], v[68:69], v[66:67]
	v_fma_f64 v[231:232], v[136:137], s[30:31], -v[172:173]
	v_fma_f64 v[68:69], v[136:137], s[30:31], v[172:173]
	s_delay_alu instid0(VALU_DEP_2) | instskip(NEXT) | instid1(VALU_DEP_2)
	v_add_f64_e32 v[231:232], v[92:93], v[231:232]
	v_add_f64_e32 v[68:69], v[92:93], v[68:69]
	s_delay_alu instid0(VALU_DEP_2) | instskip(SKIP_1) | instid1(VALU_DEP_1)
	v_add_f64_e32 v[231:232], v[233:234], v[231:232]
	v_mul_f64_e32 v[233:234], s[26:27], v[108:109]
	v_fma_f64 v[108:109], v[38:39], s[36:37], v[233:234]
	s_delay_alu instid0(VALU_DEP_1) | instskip(SKIP_1) | instid1(VALU_DEP_1)
	v_add_f64_e32 v[106:107], v[108:109], v[106:107]
	v_fma_f64 v[108:109], v[18:19], s[26:27], -v[102:103]
	v_add_f64_e32 v[108:109], v[108:109], v[231:232]
	v_fma_f64 v[231:232], v[20:21], s[48:49], v[144:145]
	s_delay_alu instid0(VALU_DEP_1) | instskip(SKIP_1) | instid1(VALU_DEP_1)
	v_add_f64_e32 v[106:107], v[231:232], v[106:107]
	v_fma_f64 v[231:232], v[14:15], s[0:1], -v[166:167]
	v_add_f64_e32 v[108:109], v[231:232], v[108:109]
	v_mul_f64_e32 v[231:232], s[20:21], v[112:113]
	v_dual_mov_b32 v113, v13 :: v_dual_mov_b32 v112, v12
	v_mov_b32_e32 v27, v135
	v_mul_f64_e32 v[134:135], s[38:39], v[50:51]
	s_delay_alu instid0(VALU_DEP_2) | instskip(SKIP_1) | instid1(VALU_DEP_1)
	v_mul_f64_e32 v[26:27], s[10:11], v[26:27]
	v_fma_f64 v[72:73], v[12:13], s[38:39], v[231:232]
	v_add_f64_e32 v[72:73], v[72:73], v[106:107]
	s_delay_alu instid0(VALU_DEP_4) | instskip(NEXT) | instid1(VALU_DEP_1)
	v_fma_f64 v[106:107], v[10:11], s[20:21], -v[134:135]
	v_add_f64_e32 v[106:107], v[106:107], v[108:109]
	v_fma_f64 v[108:109], v[8:9], s[44:45], v[22:23]
	v_fma_f64 v[22:23], v[8:9], s[12:13], v[22:23]
	s_delay_alu instid0(VALU_DEP_2) | instskip(SKIP_1) | instid1(VALU_DEP_1)
	v_add_f64_e32 v[72:73], v[108:109], v[72:73]
	v_fma_f64 v[108:109], v[6:7], s[6:7], -v[237:238]
	v_add_f64_e32 v[106:107], v[108:109], v[106:107]
	v_fma_f64 v[108:109], v[2:3], s[24:25], v[241:242]
	s_delay_alu instid0(VALU_DEP_1) | instskip(SKIP_1) | instid1(VALU_DEP_1)
	v_add_f64_e32 v[72:73], v[108:109], v[72:73]
	v_fma_f64 v[108:109], v[0:1], s[14:15], -v[24:25]
	v_add_f64_e32 v[106:107], v[108:109], v[106:107]
	v_fma_f64 v[108:109], v[239:240], s[50:51], v[26:27]
	v_fma_f64 v[26:27], v[239:240], s[42:43], v[26:27]
	s_delay_alu instid0(VALU_DEP_2) | instskip(SKIP_2) | instid1(VALU_DEP_2)
	v_add_f64_e32 v[108:109], v[108:109], v[72:73]
	v_fma_f64 v[72:73], v[4:5], s[10:11], -v[28:29]
	v_fma_f64 v[28:29], v[4:5], s[10:11], v[28:29]
	v_add_f64_e32 v[106:107], v[72:73], v[106:107]
	v_mad_co_u64_u32 v[72:73], null, s8, v76, 0
	s_delay_alu instid0(VALU_DEP_1) | instskip(NEXT) | instid1(VALU_DEP_1)
	v_mov_b32_e32 v31, v73
	v_mad_co_u64_u32 v[76:77], null, s9, v76, v[31:32]
	s_delay_alu instid0(VALU_DEP_1) | instskip(SKIP_3) | instid1(VALU_DEP_4)
	v_mov_b32_e32 v73, v76
	v_dual_mov_b32 v77, v3 :: v_dual_mov_b32 v76, v2
	v_fma_f64 v[2:3], v[136:137], s[26:27], v[43:44]
	v_mov_b32_e32 v43, v15
	v_lshlrev_b64_e32 v[72:73], 4, v[72:73]
	v_mov_b32_e32 v42, v14
	s_delay_alu instid0(VALU_DEP_2) | instskip(SKIP_1) | instid1(VALU_DEP_3)
	v_add_co_u32 v72, vcc_lo, v30, v72
	s_wait_alu 0xfffd
	v_add_co_ci_u32_e32 v73, vcc_lo, v230, v73, vcc_lo
	global_store_b128 v[72:73], v[106:109], off
	v_fma_f64 v[72:73], v[204:205], s[2:3], v[140:141]
	v_add_f64_e32 v[2:3], v[92:93], v[2:3]
	s_delay_alu instid0(VALU_DEP_2) | instskip(SKIP_1) | instid1(VALU_DEP_1)
	v_add_f64_e32 v[68:69], v[72:73], v[68:69]
	v_fma_f64 v[72:73], v[38:39], s[28:29], v[233:234]
	v_add_f64_e32 v[66:67], v[72:73], v[66:67]
	v_fma_f64 v[72:73], v[18:19], s[26:27], v[102:103]
	s_delay_alu instid0(VALU_DEP_1) | instskip(SKIP_1) | instid1(VALU_DEP_1)
	v_add_f64_e32 v[68:69], v[72:73], v[68:69]
	v_fma_f64 v[72:73], v[20:21], s[18:19], v[144:145]
	v_add_f64_e32 v[66:67], v[72:73], v[66:67]
	v_fma_f64 v[72:73], v[14:15], s[0:1], v[166:167]
	s_delay_alu instid0(VALU_DEP_1) | instskip(SKIP_1) | instid1(VALU_DEP_1)
	v_add_f64_e32 v[68:69], v[72:73], v[68:69]
	v_fma_f64 v[72:73], v[12:13], s[22:23], v[231:232]
	v_add_f64_e32 v[66:67], v[72:73], v[66:67]
	v_fma_f64 v[72:73], v[10:11], s[20:21], v[134:135]
	s_delay_alu instid0(VALU_DEP_2) | instskip(NEXT) | instid1(VALU_DEP_2)
	v_add_f64_e32 v[22:23], v[22:23], v[66:67]
	v_add_f64_e32 v[68:69], v[72:73], v[68:69]
	v_fma_f64 v[66:67], v[6:7], s[6:7], v[237:238]
	v_dual_mov_b32 v73, v1 :: v_dual_mov_b32 v72, v0
	v_fma_f64 v[0:1], v[52:53], s[12:13], v[64:65]
	s_delay_alu instid0(VALU_DEP_2) | instskip(NEXT) | instid1(VALU_DEP_4)
	v_fma_f64 v[24:25], v[72:73], s[14:15], v[24:25]
	v_add_f64_e32 v[66:67], v[66:67], v[68:69]
	v_fma_f64 v[68:69], v[76:77], s[16:17], v[241:242]
	s_delay_alu instid0(VALU_DEP_2) | instskip(NEXT) | instid1(VALU_DEP_2)
	v_add_f64_e32 v[24:25], v[24:25], v[66:67]
	v_add_f64_e32 v[22:23], v[68:69], v[22:23]
	s_delay_alu instid0(VALU_DEP_2) | instskip(NEXT) | instid1(VALU_DEP_2)
	v_add_f64_e32 v[106:107], v[28:29], v[24:25]
	v_add_f64_e32 v[108:109], v[26:27], v[22:23]
	v_or_b32_e32 v24, 0x90, v255
	s_delay_alu instid0(VALU_DEP_1) | instskip(NEXT) | instid1(VALU_DEP_1)
	v_mad_co_u64_u32 v[22:23], null, s8, v24, 0
	v_mad_co_u64_u32 v[23:24], null, s9, v24, v[23:24]
	v_fma_f64 v[24:25], v[4:5], s[14:15], v[46:47]
	s_delay_alu instid0(VALU_DEP_2) | instskip(NEXT) | instid1(VALU_DEP_1)
	v_lshlrev_b64_e32 v[22:23], 4, v[22:23]
	v_add_co_u32 v22, vcc_lo, v30, v22
	s_wait_alu 0xfffd
	s_delay_alu instid0(VALU_DEP_2) | instskip(SKIP_2) | instid1(VALU_DEP_1)
	v_add_co_ci_u32_e32 v23, vcc_lo, v230, v23, vcc_lo
	global_store_b128 v[22:23], v[106:109], off
	v_fma_f64 v[22:23], v[94:95], s[28:29], v[48:49]
	v_add_f64_e32 v[22:23], v[16:17], v[22:23]
	s_delay_alu instid0(VALU_DEP_1)
	v_add_f64_e32 v[0:1], v[0:1], v[22:23]
	v_fma_f64 v[22:23], v[204:205], s[6:7], v[110:111]
	v_dual_mov_b32 v111, v9 :: v_dual_mov_b32 v110, v8
	v_dual_mov_b32 v29, v5 :: v_dual_mov_b32 v28, v4
	;; [unrolled: 1-line block ×4, first 2 shown]
	s_delay_alu instid0(VALU_DEP_4)
	v_dual_mov_b32 v44, v18 :: v_dual_mov_b32 v31, v110
	v_dual_mov_b32 v103, v7 :: v_dual_mov_b32 v32, v111
	;; [unrolled: 1-line block ×4, first 2 shown]
	v_add_f64_e32 v[2:3], v[22:23], v[2:3]
	v_fma_f64 v[22:23], v[38:39], s[50:51], v[40:41]
	v_dual_mov_b32 v41, v21 :: v_dual_mov_b32 v40, v20
	s_delay_alu instid0(VALU_DEP_2) | instskip(SKIP_2) | instid1(VALU_DEP_2)
	v_add_f64_e32 v[0:1], v[22:23], v[0:1]
	v_fma_f64 v[22:23], v[18:19], s[10:11], v[114:115]
	v_dual_mov_b32 v115, v11 :: v_dual_mov_b32 v114, v10
	v_add_f64_e32 v[2:3], v[22:23], v[2:3]
	v_fma_f64 v[22:23], v[20:21], s[38:39], v[116:117]
	s_delay_alu instid0(VALU_DEP_1) | instskip(SKIP_1) | instid1(VALU_DEP_1)
	v_add_f64_e32 v[0:1], v[22:23], v[0:1]
	v_fma_f64 v[22:23], v[14:15], s[20:21], v[118:119]
	v_add_f64_e32 v[2:3], v[22:23], v[2:3]
	v_fma_f64 v[22:23], v[12:13], s[46:47], v[120:121]
	s_delay_alu instid0(VALU_DEP_1) | instskip(SKIP_2) | instid1(VALU_DEP_2)
	v_add_f64_e32 v[0:1], v[22:23], v[0:1]
	v_fma_f64 v[22:23], v[10:11], s[2:3], v[122:123]
	v_fma_f64 v[10:11], v[28:29], s[0:1], v[194:195]
	v_add_f64_e32 v[2:3], v[22:23], v[2:3]
	v_fma_f64 v[22:23], v[8:9], s[34:35], v[124:125]
	v_fma_f64 v[8:9], v[204:205], s[14:15], v[70:71]
	s_delay_alu instid0(VALU_DEP_2) | instskip(SKIP_3) | instid1(VALU_DEP_3)
	v_add_f64_e32 v[0:1], v[22:23], v[0:1]
	v_fma_f64 v[22:23], v[6:7], s[30:31], v[35:36]
	v_fma_f64 v[6:7], v[110:111], s[48:49], v[62:63]
	v_dual_mov_b32 v36, v72 :: v_dual_mov_b32 v37, v73
	v_add_f64_e32 v[2:3], v[22:23], v[2:3]
	v_fma_f64 v[22:23], v[76:77], s[18:19], v[128:129]
	s_delay_alu instid0(VALU_DEP_1) | instskip(SKIP_1) | instid1(VALU_DEP_1)
	v_add_f64_e32 v[0:1], v[22:23], v[0:1]
	v_fma_f64 v[22:23], v[72:73], s[0:1], v[130:131]
	v_add_f64_e32 v[2:3], v[22:23], v[2:3]
	v_fma_f64 v[22:23], v[239:240], s[16:17], v[132:133]
	s_delay_alu instid0(VALU_DEP_2) | instskip(NEXT) | instid1(VALU_DEP_2)
	v_add_f64_e32 v[106:107], v[24:25], v[2:3]
	v_add_f64_e32 v[108:109], v[22:23], v[0:1]
	v_or_b32_e32 v2, 0xa0, v255
	v_mov_b32_e32 v24, v102
	v_dual_mov_b32 v22, v72 :: v_dual_mov_b32 v25, v103
	v_mov_b32_e32 v23, v73
	s_delay_alu instid0(VALU_DEP_4) | instskip(NEXT) | instid1(VALU_DEP_1)
	v_mad_co_u64_u32 v[0:1], null, s8, v2, 0
	v_mad_co_u64_u32 v[1:2], null, s9, v2, v[1:2]
	v_fma_f64 v[2:3], v[52:53], s[24:25], v[78:79]
	s_delay_alu instid0(VALU_DEP_2) | instskip(NEXT) | instid1(VALU_DEP_1)
	v_lshlrev_b64_e32 v[0:1], 4, v[0:1]
	v_add_co_u32 v0, vcc_lo, v30, v0
	s_wait_alu 0xfffd
	s_delay_alu instid0(VALU_DEP_2) | instskip(SKIP_2) | instid1(VALU_DEP_1)
	v_add_co_ci_u32_e32 v1, vcc_lo, v230, v1, vcc_lo
	global_store_b128 v[0:1], v[106:109], off
	v_fma_f64 v[0:1], v[94:95], s[22:23], v[235:236]
	v_add_f64_e32 v[0:1], v[16:17], v[0:1]
	s_delay_alu instid0(VALU_DEP_1) | instskip(SKIP_1) | instid1(VALU_DEP_1)
	v_add_f64_e32 v[0:1], v[2:3], v[0:1]
	v_fma_f64 v[2:3], v[136:137], s[20:21], v[74:75]
	v_add_f64_e32 v[2:3], v[92:93], v[2:3]
	s_delay_alu instid0(VALU_DEP_1) | instskip(SKIP_1) | instid1(VALU_DEP_1)
	v_add_f64_e32 v[2:3], v[8:9], v[2:3]
	v_fma_f64 v[8:9], v[38:39], s[46:47], v[243:244]
	v_add_f64_e32 v[0:1], v[8:9], v[0:1]
	v_fma_f64 v[8:9], v[18:19], s[2:3], v[245:246]
	s_delay_alu instid0(VALU_DEP_1) | instskip(SKIP_1) | instid1(VALU_DEP_1)
	v_add_f64_e32 v[2:3], v[8:9], v[2:3]
	v_fma_f64 v[8:9], v[20:21], s[28:29], v[247:248]
	v_add_f64_e32 v[0:1], v[8:9], v[0:1]
	v_fma_f64 v[8:9], v[14:15], s[26:27], v[249:250]
	;; [unrolled: 5-line block ×3, first 2 shown]
	s_delay_alu instid0(VALU_DEP_2) | instskip(NEXT) | instid1(VALU_DEP_2)
	v_add_f64_e32 v[0:1], v[6:7], v[0:1]
	v_add_f64_e32 v[2:3], v[8:9], v[2:3]
	v_fma_f64 v[6:7], v[102:103], s[0:1], v[228:229]
	v_fma_f64 v[8:9], v[28:29], s[6:7], v[54:55]
	s_delay_alu instid0(VALU_DEP_2) | instskip(SKIP_1) | instid1(VALU_DEP_1)
	v_add_f64_e32 v[2:3], v[6:7], v[2:3]
	v_fma_f64 v[6:7], v[76:77], s[34:35], v[60:61]
	v_add_f64_e32 v[0:1], v[6:7], v[0:1]
	v_fma_f64 v[6:7], v[36:37], s[30:31], v[58:59]
	s_delay_alu instid0(VALU_DEP_1) | instskip(SKIP_1) | instid1(VALU_DEP_2)
	v_add_f64_e32 v[2:3], v[6:7], v[2:3]
	v_fma_f64 v[6:7], v[239:240], s[12:13], v[56:57]
	v_add_f64_e32 v[106:107], v[8:9], v[2:3]
	s_delay_alu instid0(VALU_DEP_2) | instskip(SKIP_3) | instid1(VALU_DEP_3)
	v_add_f64_e32 v[108:109], v[6:7], v[0:1]
	v_or_b32_e32 v2, 0xb0, v255
	v_fma_f64 v[6:7], v[204:205], s[26:27], v[80:81]
	v_fma_f64 v[8:9], v[28:29], s[20:21], v[226:227]
	v_mad_co_u64_u32 v[0:1], null, s8, v2, 0
	s_delay_alu instid0(VALU_DEP_1) | instskip(SKIP_1) | instid1(VALU_DEP_2)
	v_mad_co_u64_u32 v[1:2], null, s9, v2, v[1:2]
	v_fma_f64 v[2:3], v[52:53], s[36:37], v[198:199]
	v_lshlrev_b64_e32 v[0:1], 4, v[0:1]
	s_delay_alu instid0(VALU_DEP_1) | instskip(SKIP_1) | instid1(VALU_DEP_2)
	v_add_co_u32 v0, vcc_lo, v30, v0
	s_wait_alu 0xfffd
	v_add_co_ci_u32_e32 v1, vcc_lo, v230, v1, vcc_lo
	global_store_b128 v[0:1], v[106:109], off
	v_fma_f64 v[0:1], v[94:95], s[16:17], v[196:197]
	s_delay_alu instid0(VALU_DEP_1) | instskip(NEXT) | instid1(VALU_DEP_1)
	v_add_f64_e32 v[0:1], v[16:17], v[0:1]
	v_add_f64_e32 v[0:1], v[2:3], v[0:1]
	v_fma_f64 v[2:3], v[136:137], s[14:15], v[200:201]
	s_delay_alu instid0(VALU_DEP_1) | instskip(NEXT) | instid1(VALU_DEP_1)
	v_add_f64_e32 v[2:3], v[92:93], v[2:3]
	v_add_f64_e32 v[2:3], v[6:7], v[2:3]
	v_fma_f64 v[6:7], v[38:39], s[18:19], v[202:203]
	s_delay_alu instid0(VALU_DEP_1) | instskip(SKIP_1) | instid1(VALU_DEP_1)
	v_add_f64_e32 v[0:1], v[6:7], v[0:1]
	v_fma_f64 v[6:7], v[18:19], s[0:1], v[206:207]
	v_add_f64_e32 v[2:3], v[6:7], v[2:3]
	v_fma_f64 v[6:7], v[20:21], s[44:45], v[208:209]
	s_delay_alu instid0(VALU_DEP_1) | instskip(SKIP_1) | instid1(VALU_DEP_1)
	v_add_f64_e32 v[0:1], v[6:7], v[0:1]
	v_fma_f64 v[6:7], v[14:15], s[6:7], v[210:211]
	;; [unrolled: 5-line block ×5, first 2 shown]
	v_add_f64_e32 v[2:3], v[6:7], v[2:3]
	v_fma_f64 v[6:7], v[239:240], s[22:23], v[224:225]
	s_delay_alu instid0(VALU_DEP_2) | instskip(NEXT) | instid1(VALU_DEP_2)
	v_add_f64_e32 v[106:107], v[8:9], v[2:3]
	v_add_f64_e32 v[108:109], v[6:7], v[0:1]
	v_or_b32_e32 v2, 0xc0, v255
	v_fma_f64 v[6:7], v[204:205], s[30:31], v[82:83]
	s_delay_alu instid0(VALU_DEP_2) | instskip(NEXT) | instid1(VALU_DEP_1)
	v_mad_co_u64_u32 v[0:1], null, s8, v2, 0
	v_mad_co_u64_u32 v[1:2], null, s9, v2, v[1:2]
	v_fma_f64 v[2:3], v[52:53], s[34:35], v[84:85]
	s_delay_alu instid0(VALU_DEP_2) | instskip(NEXT) | instid1(VALU_DEP_1)
	v_lshlrev_b64_e32 v[0:1], 4, v[0:1]
	v_add_co_u32 v0, vcc_lo, v30, v0
	s_wait_alu 0xfffd
	s_delay_alu instid0(VALU_DEP_2) | instskip(SKIP_2) | instid1(VALU_DEP_1)
	v_add_co_ci_u32_e32 v1, vcc_lo, v230, v1, vcc_lo
	global_store_b128 v[0:1], v[106:109], off
	v_fma_f64 v[0:1], v[94:95], s[50:51], v[86:87]
	v_add_f64_e32 v[0:1], v[16:17], v[0:1]
	s_delay_alu instid0(VALU_DEP_1) | instskip(SKIP_1) | instid1(VALU_DEP_1)
	v_add_f64_e32 v[0:1], v[2:3], v[0:1]
	v_fma_f64 v[2:3], v[136:137], s[10:11], v[168:169]
	v_add_f64_e32 v[2:3], v[92:93], v[2:3]
	s_delay_alu instid0(VALU_DEP_1) | instskip(SKIP_2) | instid1(VALU_DEP_2)
	v_add_f64_e32 v[2:3], v[6:7], v[2:3]
	v_fma_f64 v[6:7], v[38:39], s[24:25], v[170:171]
	v_dual_mov_b32 v38, v114 :: v_dual_mov_b32 v39, v115
	v_add_f64_e32 v[0:1], v[6:7], v[0:1]
	v_fma_f64 v[6:7], v[18:19], s[14:15], v[174:175]
	v_dual_mov_b32 v18, v28 :: v_dual_mov_b32 v19, v29
	s_delay_alu instid0(VALU_DEP_2) | instskip(SKIP_2) | instid1(VALU_DEP_2)
	v_add_f64_e32 v[2:3], v[6:7], v[2:3]
	v_fma_f64 v[6:7], v[20:21], s[4:5], v[176:177]
	v_dual_mov_b32 v20, v76 :: v_dual_mov_b32 v21, v77
	v_add_f64_e32 v[0:1], v[6:7], v[0:1]
	v_fma_f64 v[6:7], v[14:15], s[2:3], v[178:179]
	v_fma_f64 v[14:15], v[18:19], s[26:27], v[88:89]
	s_delay_alu instid0(VALU_DEP_2) | instskip(SKIP_1) | instid1(VALU_DEP_1)
	v_add_f64_e32 v[2:3], v[6:7], v[2:3]
	v_fma_f64 v[6:7], v[112:113], s[44:45], v[180:181]
	v_add_f64_e32 v[0:1], v[6:7], v[0:1]
	v_fma_f64 v[6:7], v[114:115], s[6:7], v[182:183]
	s_delay_alu instid0(VALU_DEP_1) | instskip(SKIP_1) | instid1(VALU_DEP_1)
	v_add_f64_e32 v[2:3], v[6:7], v[2:3]
	v_fma_f64 v[6:7], v[110:111], s[28:29], v[184:185]
	v_add_f64_e32 v[0:1], v[6:7], v[0:1]
	v_fma_f64 v[6:7], v[102:103], s[26:27], v[186:187]
	s_delay_alu instid0(VALU_DEP_1) | instskip(SKIP_1) | instid1(VALU_DEP_1)
	;; [unrolled: 5-line block ×3, first 2 shown]
	v_add_f64_e32 v[2:3], v[6:7], v[2:3]
	v_fma_f64 v[6:7], v[239:240], s[18:19], v[192:193]
	v_add_f64_e32 v[8:9], v[6:7], v[0:1]
	s_delay_alu instid0(VALU_DEP_3) | instskip(SKIP_3) | instid1(VALU_DEP_1)
	v_add_f64_e32 v[6:7], v[10:11], v[2:3]
	v_or_b32_e32 v2, 0xd0, v255
	scratch_load_b64 v[10:11], off, off offset:88 th:TH_LOAD_LU ; 8-byte Folded Reload
	v_mad_co_u64_u32 v[0:1], null, s8, v2, 0
	v_mad_co_u64_u32 v[1:2], null, s9, v2, v[1:2]
	scratch_load_b64 v[2:3], off, off offset:160 th:TH_LOAD_LU ; 8-byte Folded Reload
	v_lshlrev_b64_e32 v[0:1], 4, v[0:1]
	s_delay_alu instid0(VALU_DEP_1) | instskip(SKIP_1) | instid1(VALU_DEP_2)
	v_add_co_u32 v0, vcc_lo, v30, v0
	s_wait_alu 0xfffd
	v_add_co_ci_u32_e32 v1, vcc_lo, v230, v1, vcc_lo
	global_store_b128 v[0:1], v[6:9], off
	scratch_load_b64 v[6:7], off, off offset:80 th:TH_LOAD_LU ; 8-byte Folded Reload
	v_fma_f64 v[0:1], v[94:95], s[44:45], v[104:105]
	s_delay_alu instid0(VALU_DEP_1)
	v_add_f64_e32 v[0:1], v[4:5], v[0:1]
	s_wait_loadcnt 0x2
	v_fma_f64 v[10:11], v[136:137], s[2:3], v[10:11]
	s_wait_loadcnt 0x1
	v_fma_f64 v[2:3], v[94:95], s[48:49], v[2:3]
	;; [unrolled: 2-line block ×3, first 2 shown]
	s_delay_alu instid0(VALU_DEP_3) | instskip(NEXT) | instid1(VALU_DEP_3)
	v_add_f64_e32 v[10:11], v[92:93], v[10:11]
	v_add_f64_e32 v[2:3], v[4:5], v[2:3]
	s_delay_alu instid0(VALU_DEP_3) | instskip(SKIP_2) | instid1(VALU_DEP_1)
	v_add_f64_e32 v[8:9], v[4:5], v[6:7]
	scratch_load_b64 v[6:7], off, off offset:152 th:TH_LOAD_LU ; 8-byte Folded Reload
	v_fma_f64 v[4:5], v[136:137], s[6:7], v[90:91]
	v_add_f64_e32 v[4:5], v[92:93], v[4:5]
	s_wait_loadcnt 0x0
	v_fma_f64 v[6:7], v[136:137], s[0:1], v[6:7]
	s_delay_alu instid0(VALU_DEP_1) | instskip(SKIP_1) | instid1(VALU_DEP_1)
	v_add_f64_e32 v[12:13], v[92:93], v[6:7]
	v_fma_f64 v[6:7], v[52:53], s[22:23], v[138:139]
	v_add_f64_e32 v[0:1], v[6:7], v[0:1]
	v_fma_f64 v[6:7], v[204:205], s[20:21], v[96:97]
	s_delay_alu instid0(VALU_DEP_1) | instskip(SKIP_1) | instid1(VALU_DEP_1)
	v_add_f64_e32 v[4:5], v[6:7], v[4:5]
	v_fma_f64 v[6:7], v[46:47], s[40:41], v[142:143]
	v_add_f64_e32 v[0:1], v[6:7], v[0:1]
	;; [unrolled: 5-line block ×6, first 2 shown]
	v_fma_f64 v[6:7], v[22:23], s[10:11], v[162:163]
	s_delay_alu instid0(VALU_DEP_1) | instskip(SKIP_1) | instid1(VALU_DEP_2)
	v_add_f64_e32 v[4:5], v[6:7], v[4:5]
	v_fma_f64 v[6:7], v[239:240], s[28:29], v[164:165]
	v_add_f64_e32 v[4:5], v[14:15], v[4:5]
	s_delay_alu instid0(VALU_DEP_2) | instskip(SKIP_4) | instid1(VALU_DEP_1)
	v_add_f64_e32 v[6:7], v[6:7], v[0:1]
	scratch_load_b64 v[0:1], off, off offset:128 th:TH_LOAD_LU ; 8-byte Folded Reload
	v_fma_f64 v[14:15], v[18:19], s[2:3], v[98:99]
	s_wait_loadcnt 0x0
	v_fma_f64 v[0:1], v[52:53], s[50:51], v[0:1]
	v_add_f64_e32 v[0:1], v[0:1], v[2:3]
	scratch_load_b64 v[2:3], off, off offset:136 th:TH_LOAD_LU ; 8-byte Folded Reload
	s_wait_loadcnt 0x0
	v_fma_f64 v[2:3], v[204:205], s[10:11], v[2:3]
	s_delay_alu instid0(VALU_DEP_1) | instskip(SKIP_3) | instid1(VALU_DEP_1)
	v_add_f64_e32 v[2:3], v[2:3], v[12:13]
	scratch_load_b64 v[12:13], off, off offset:144 th:TH_LOAD_LU ; 8-byte Folded Reload
	s_wait_loadcnt 0x0
	v_fma_f64 v[12:13], v[46:47], s[22:23], v[12:13]
	v_add_f64_e32 v[0:1], v[12:13], v[0:1]
	scratch_load_b64 v[12:13], off, off offset:168 th:TH_LOAD_LU ; 8-byte Folded Reload
	s_wait_loadcnt 0x0
	v_fma_f64 v[12:13], v[44:45], s[20:21], v[12:13]
	s_delay_alu instid0(VALU_DEP_1) | instskip(SKIP_3) | instid1(VALU_DEP_1)
	v_add_f64_e32 v[2:3], v[12:13], v[2:3]
	scratch_load_b64 v[12:13], off, off offset:176 th:TH_LOAD_LU ; 8-byte Folded Reload
	s_wait_loadcnt 0x0
	v_fma_f64 v[12:13], v[40:41], s[34:35], v[12:13]
	v_add_f64_e32 v[0:1], v[12:13], v[0:1]
	scratch_load_b64 v[12:13], off, off offset:184 th:TH_LOAD_LU ; 8-byte Folded Reload
	s_wait_loadcnt 0x0
	v_fma_f64 v[12:13], v[42:43], s[30:31], v[12:13]
	s_delay_alu instid0(VALU_DEP_1) | instskip(SKIP_3) | instid1(VALU_DEP_1)
	v_add_f64_e32 v[2:3], v[12:13], v[2:3]
	scratch_load_b64 v[12:13], off, off offset:192 th:TH_LOAD_LU ; 8-byte Folded Reload
	s_wait_loadcnt 0x0
	v_fma_f64 v[12:13], v[33:34], s[36:37], v[12:13]
	v_add_f64_e32 v[0:1], v[12:13], v[0:1]
	scratch_load_b64 v[12:13], off, off offset:200 th:TH_LOAD_LU ; 8-byte Folded Reload
	s_wait_loadcnt 0x0
	v_fma_f64 v[12:13], v[38:39], s[26:27], v[12:13]
	s_delay_alu instid0(VALU_DEP_1) | instskip(SKIP_3) | instid1(VALU_DEP_1)
	v_add_f64_e32 v[2:3], v[12:13], v[2:3]
	scratch_load_b64 v[12:13], off, off offset:208 th:TH_LOAD_LU ; 8-byte Folded Reload
	s_wait_loadcnt 0x0
	v_fma_f64 v[12:13], v[31:32], s[24:25], v[12:13]
	v_add_f64_e32 v[0:1], v[12:13], v[0:1]
	scratch_load_b64 v[12:13], off, off offset:216 th:TH_LOAD_LU ; 8-byte Folded Reload
	s_wait_loadcnt 0x0
	v_fma_f64 v[12:13], v[24:25], s[14:15], v[12:13]
	s_delay_alu instid0(VALU_DEP_1) | instskip(SKIP_3) | instid1(VALU_DEP_1)
	v_add_f64_e32 v[2:3], v[12:13], v[2:3]
	scratch_load_b64 v[12:13], off, off offset:224 th:TH_LOAD_LU ; 8-byte Folded Reload
	s_wait_loadcnt 0x0
	v_fma_f64 v[12:13], v[20:21], s[12:13], v[12:13]
	v_add_f64_e32 v[0:1], v[12:13], v[0:1]
	scratch_load_b64 v[12:13], off, off offset:232 th:TH_LOAD_LU ; 8-byte Folded Reload
	s_wait_loadcnt 0x0
	v_fma_f64 v[12:13], v[22:23], s[6:7], v[12:13]
	s_delay_alu instid0(VALU_DEP_1) | instskip(SKIP_1) | instid1(VALU_DEP_2)
	v_add_f64_e32 v[2:3], v[12:13], v[2:3]
	v_fma_f64 v[12:13], v[239:240], s[4:5], v[100:101]
	v_add_f64_e32 v[48:49], v[14:15], v[2:3]
	s_delay_alu instid0(VALU_DEP_2)
	v_add_f64_e32 v[50:51], v[12:13], v[0:1]
	s_clause 0x3
	scratch_load_b64 v[0:1], off, off th:TH_LOAD_LU
	scratch_load_b64 v[2:3], off, off offset:8 th:TH_LOAD_LU
	scratch_load_b64 v[12:13], off, off offset:16 th:TH_LOAD_LU
	;; [unrolled: 1-line block ×3, first 2 shown]
	s_wait_loadcnt 0x3
	v_fma_f64 v[0:1], v[52:53], s[48:49], v[0:1]
	s_wait_loadcnt 0x2
	v_fma_f64 v[2:3], v[204:205], s[0:1], v[2:3]
	;; [unrolled: 2-line block ×4, first 2 shown]
	s_delay_alu instid0(VALU_DEP_4)
	v_add_f64_e32 v[0:1], v[0:1], v[8:9]
	scratch_load_b64 v[8:9], off, off offset:32 th:TH_LOAD_LU ; 8-byte Folded Reload
	v_add_f64_e32 v[2:3], v[2:3], v[10:11]
	scratch_load_b64 v[10:11], off, off offset:40 th:TH_LOAD_LU ; 8-byte Folded Reload
	;; [unrolled: 2-line block ×4, first 2 shown]
	s_wait_loadcnt 0x3
	v_fma_f64 v[8:9], v[40:41], s[50:51], v[8:9]
	s_wait_loadcnt 0x2
	v_fma_f64 v[10:11], v[42:43], s[10:11], v[10:11]
	s_delay_alu instid0(VALU_DEP_2)
	v_add_f64_e32 v[0:1], v[8:9], v[0:1]
	scratch_load_b64 v[8:9], off, off offset:64 th:TH_LOAD_LU ; 8-byte Folded Reload
	v_add_f64_e32 v[2:3], v[10:11], v[2:3]
	scratch_load_b64 v[10:11], off, off offset:72 th:TH_LOAD_LU ; 8-byte Folded Reload
	s_wait_loadcnt 0x3
	v_fma_f64 v[12:13], v[33:34], s[16:17], v[12:13]
	s_wait_loadcnt 0x2
	v_fma_f64 v[14:15], v[38:39], s[14:15], v[14:15]
	s_delay_alu instid0(VALU_DEP_2)
	v_add_f64_e32 v[0:1], v[12:13], v[0:1]
	scratch_load_b64 v[12:13], off, off offset:96 th:TH_LOAD_LU ; 8-byte Folded Reload
	v_add_f64_e32 v[2:3], v[14:15], v[2:3]
	scratch_load_b64 v[14:15], off, off offset:104 th:TH_LOAD_LU ; 8-byte Folded Reload
	;; [unrolled: 9-line block ×3, first 2 shown]
	s_wait_loadcnt 0x3
	v_fma_f64 v[12:13], v[20:21], s[28:29], v[12:13]
	s_wait_loadcnt 0x2
	v_fma_f64 v[14:15], v[22:23], s[26:27], v[14:15]
	s_delay_alu instid0(VALU_DEP_2) | instskip(NEXT) | instid1(VALU_DEP_2)
	v_add_f64_e32 v[0:1], v[12:13], v[0:1]
	v_add_f64_e32 v[12:13], v[14:15], v[2:3]
	v_or_b32_e32 v14, 0xe0, v255
	s_wait_loadcnt 0x1
	v_fma_f64 v[8:9], v[239:240], s[34:35], v[8:9]
	s_wait_loadcnt 0x0
	v_fma_f64 v[10:11], v[18:19], s[30:31], v[10:11]
	s_delay_alu instid0(VALU_DEP_2) | instskip(SKIP_1) | instid1(VALU_DEP_3)
	v_add_f64_e32 v[2:3], v[8:9], v[0:1]
	v_mad_co_u64_u32 v[8:9], null, s8, v14, 0
	v_add_f64_e32 v[0:1], v[10:11], v[12:13]
	v_or_b32_e32 v12, 0xf0, v255
	s_delay_alu instid0(VALU_DEP_3) | instskip(NEXT) | instid1(VALU_DEP_2)
	v_mad_co_u64_u32 v[9:10], null, s9, v14, v[9:10]
	v_mad_co_u64_u32 v[10:11], null, s8, v12, 0
	v_or_b32_e32 v14, 0x100, v255
	s_delay_alu instid0(VALU_DEP_3) | instskip(NEXT) | instid1(VALU_DEP_3)
	v_lshlrev_b64_e32 v[8:9], 4, v[8:9]
	v_mad_co_u64_u32 v[11:12], null, s9, v12, v[11:12]
	s_delay_alu instid0(VALU_DEP_3) | instskip(NEXT) | instid1(VALU_DEP_3)
	v_mad_co_u64_u32 v[12:13], null, s8, v14, 0
	v_add_co_u32 v8, vcc_lo, v30, v8
	s_wait_alu 0xfffd
	s_delay_alu instid0(VALU_DEP_4) | instskip(NEXT) | instid1(VALU_DEP_4)
	v_add_co_ci_u32_e32 v9, vcc_lo, v230, v9, vcc_lo
	v_lshlrev_b64_e32 v[10:11], 4, v[10:11]
	s_delay_alu instid0(VALU_DEP_4) | instskip(NEXT) | instid1(VALU_DEP_2)
	v_mad_co_u64_u32 v[13:14], null, s9, v14, v[13:14]
	v_add_co_u32 v10, vcc_lo, v30, v10
	s_wait_alu 0xfffd
	s_delay_alu instid0(VALU_DEP_3) | instskip(NEXT) | instid1(VALU_DEP_3)
	v_add_co_ci_u32_e32 v11, vcc_lo, v230, v11, vcc_lo
	v_lshlrev_b64_e32 v[12:13], 4, v[12:13]
	s_delay_alu instid0(VALU_DEP_1) | instskip(SKIP_1) | instid1(VALU_DEP_2)
	v_add_co_u32 v12, vcc_lo, v30, v12
	s_wait_alu 0xfffd
	v_add_co_ci_u32_e32 v13, vcc_lo, v230, v13, vcc_lo
	s_clause 0x2
	global_store_b128 v[8:9], v[4:7], off
	global_store_b128 v[10:11], v[48:51], off
	;; [unrolled: 1-line block ×3, first 2 shown]
	s_endpgm
	.section	.rodata,"a",@progbits
	.p2align	6, 0x0
	.amdhsa_kernel fft_rtc_fwd_len272_factors_16_17_wgs_119_tpt_17_halfLds_dp_ip_CI_sbrr_dirReg
		.amdhsa_group_segment_fixed_size 0
		.amdhsa_private_segment_fixed_size 244
		.amdhsa_kernarg_size 88
		.amdhsa_user_sgpr_count 2
		.amdhsa_user_sgpr_dispatch_ptr 0
		.amdhsa_user_sgpr_queue_ptr 0
		.amdhsa_user_sgpr_kernarg_segment_ptr 1
		.amdhsa_user_sgpr_dispatch_id 0
		.amdhsa_user_sgpr_private_segment_size 0
		.amdhsa_wavefront_size32 1
		.amdhsa_uses_dynamic_stack 0
		.amdhsa_enable_private_segment 1
		.amdhsa_system_sgpr_workgroup_id_x 1
		.amdhsa_system_sgpr_workgroup_id_y 0
		.amdhsa_system_sgpr_workgroup_id_z 0
		.amdhsa_system_sgpr_workgroup_info 0
		.amdhsa_system_vgpr_workitem_id 0
		.amdhsa_next_free_vgpr 256
		.amdhsa_next_free_sgpr 52
		.amdhsa_reserve_vcc 1
		.amdhsa_float_round_mode_32 0
		.amdhsa_float_round_mode_16_64 0
		.amdhsa_float_denorm_mode_32 3
		.amdhsa_float_denorm_mode_16_64 3
		.amdhsa_fp16_overflow 0
		.amdhsa_workgroup_processor_mode 1
		.amdhsa_memory_ordered 1
		.amdhsa_forward_progress 0
		.amdhsa_round_robin_scheduling 0
		.amdhsa_exception_fp_ieee_invalid_op 0
		.amdhsa_exception_fp_denorm_src 0
		.amdhsa_exception_fp_ieee_div_zero 0
		.amdhsa_exception_fp_ieee_overflow 0
		.amdhsa_exception_fp_ieee_underflow 0
		.amdhsa_exception_fp_ieee_inexact 0
		.amdhsa_exception_int_div_zero 0
	.end_amdhsa_kernel
	.text
.Lfunc_end0:
	.size	fft_rtc_fwd_len272_factors_16_17_wgs_119_tpt_17_halfLds_dp_ip_CI_sbrr_dirReg, .Lfunc_end0-fft_rtc_fwd_len272_factors_16_17_wgs_119_tpt_17_halfLds_dp_ip_CI_sbrr_dirReg
                                        ; -- End function
	.section	.AMDGPU.csdata,"",@progbits
; Kernel info:
; codeLenInByte = 12744
; NumSgprs: 54
; NumVgprs: 256
; ScratchSize: 244
; MemoryBound: 1
; FloatMode: 240
; IeeeMode: 1
; LDSByteSize: 0 bytes/workgroup (compile time only)
; SGPRBlocks: 6
; VGPRBlocks: 31
; NumSGPRsForWavesPerEU: 54
; NumVGPRsForWavesPerEU: 256
; Occupancy: 5
; WaveLimiterHint : 1
; COMPUTE_PGM_RSRC2:SCRATCH_EN: 1
; COMPUTE_PGM_RSRC2:USER_SGPR: 2
; COMPUTE_PGM_RSRC2:TRAP_HANDLER: 0
; COMPUTE_PGM_RSRC2:TGID_X_EN: 1
; COMPUTE_PGM_RSRC2:TGID_Y_EN: 0
; COMPUTE_PGM_RSRC2:TGID_Z_EN: 0
; COMPUTE_PGM_RSRC2:TIDIG_COMP_CNT: 0
	.text
	.p2alignl 7, 3214868480
	.fill 96, 4, 3214868480
	.type	__hip_cuid_f419f879b7e555dc,@object ; @__hip_cuid_f419f879b7e555dc
	.section	.bss,"aw",@nobits
	.globl	__hip_cuid_f419f879b7e555dc
__hip_cuid_f419f879b7e555dc:
	.byte	0                               ; 0x0
	.size	__hip_cuid_f419f879b7e555dc, 1

	.ident	"AMD clang version 19.0.0git (https://github.com/RadeonOpenCompute/llvm-project roc-6.4.0 25133 c7fe45cf4b819c5991fe208aaa96edf142730f1d)"
	.section	".note.GNU-stack","",@progbits
	.addrsig
	.addrsig_sym __hip_cuid_f419f879b7e555dc
	.amdgpu_metadata
---
amdhsa.kernels:
  - .args:
      - .actual_access:  read_only
        .address_space:  global
        .offset:         0
        .size:           8
        .value_kind:     global_buffer
      - .offset:         8
        .size:           8
        .value_kind:     by_value
      - .actual_access:  read_only
        .address_space:  global
        .offset:         16
        .size:           8
        .value_kind:     global_buffer
      - .actual_access:  read_only
        .address_space:  global
        .offset:         24
        .size:           8
        .value_kind:     global_buffer
      - .offset:         32
        .size:           8
        .value_kind:     by_value
      - .actual_access:  read_only
        .address_space:  global
        .offset:         40
        .size:           8
        .value_kind:     global_buffer
      - .actual_access:  read_only
        .address_space:  global
        .offset:         48
        .size:           8
        .value_kind:     global_buffer
      - .offset:         56
        .size:           4
        .value_kind:     by_value
      - .actual_access:  read_only
        .address_space:  global
        .offset:         64
        .size:           8
        .value_kind:     global_buffer
      - .actual_access:  read_only
        .address_space:  global
        .offset:         72
        .size:           8
        .value_kind:     global_buffer
      - .address_space:  global
        .offset:         80
        .size:           8
        .value_kind:     global_buffer
    .group_segment_fixed_size: 0
    .kernarg_segment_align: 8
    .kernarg_segment_size: 88
    .language:       OpenCL C
    .language_version:
      - 2
      - 0
    .max_flat_workgroup_size: 119
    .name:           fft_rtc_fwd_len272_factors_16_17_wgs_119_tpt_17_halfLds_dp_ip_CI_sbrr_dirReg
    .private_segment_fixed_size: 244
    .sgpr_count:     54
    .sgpr_spill_count: 0
    .symbol:         fft_rtc_fwd_len272_factors_16_17_wgs_119_tpt_17_halfLds_dp_ip_CI_sbrr_dirReg.kd
    .uniform_work_group_size: 1
    .uses_dynamic_stack: false
    .vgpr_count:     256
    .vgpr_spill_count: 60
    .wavefront_size: 32
    .workgroup_processor_mode: 1
amdhsa.target:   amdgcn-amd-amdhsa--gfx1201
amdhsa.version:
  - 1
  - 2
...

	.end_amdgpu_metadata
